;; amdgpu-corpus repo=ROCm/rocFFT kind=compiled arch=gfx1100 opt=O3
	.text
	.amdgcn_target "amdgcn-amd-amdhsa--gfx1100"
	.amdhsa_code_object_version 6
	.protected	bluestein_single_fwd_len1836_dim1_sp_op_CI_CI ; -- Begin function bluestein_single_fwd_len1836_dim1_sp_op_CI_CI
	.globl	bluestein_single_fwd_len1836_dim1_sp_op_CI_CI
	.p2align	8
	.type	bluestein_single_fwd_len1836_dim1_sp_op_CI_CI,@function
bluestein_single_fwd_len1836_dim1_sp_op_CI_CI: ; @bluestein_single_fwd_len1836_dim1_sp_op_CI_CI
; %bb.0:
	s_load_b128 s[4:7], s[0:1], 0x28
	v_mul_u32_u24_e32 v1, 0x1ad, v0
	s_mov_b32 s2, exec_lo
	v_mov_b32_e32 v81, 0
	s_delay_alu instid0(VALU_DEP_2) | instskip(NEXT) | instid1(VALU_DEP_1)
	v_lshrrev_b32_e32 v1, 16, v1
	v_add_nc_u32_e32 v80, s15, v1
	s_waitcnt lgkmcnt(0)
	s_delay_alu instid0(VALU_DEP_1)
	v_cmpx_gt_u64_e64 s[4:5], v[80:81]
	s_cbranch_execz .LBB0_15
; %bb.1:
	s_clause 0x1
	s_load_b64 s[12:13], s[0:1], 0x0
	s_load_b64 s[14:15], s[0:1], 0x38
	v_mul_lo_u16 v1, 0x99, v1
	s_delay_alu instid0(VALU_DEP_1) | instskip(NEXT) | instid1(VALU_DEP_1)
	v_sub_nc_u16 v0, v0, v1
	v_and_b32_e32 v98, 0xffff, v0
	v_cmp_gt_u16_e32 vcc_lo, 0x6c, v0
	s_delay_alu instid0(VALU_DEP_2)
	v_lshlrev_b32_e32 v97, 3, v98
	s_and_saveexec_b32 s3, vcc_lo
	s_cbranch_execz .LBB0_3
; %bb.2:
	s_load_b64 s[4:5], s[0:1], 0x18
	s_waitcnt lgkmcnt(0)
	v_add_co_u32 v20, s2, s12, v97
	s_delay_alu instid0(VALU_DEP_1)
	v_add_co_ci_u32_e64 v21, null, s13, 0, s2
	v_add_nc_u32_e32 v70, 0x400, v97
	v_add_nc_u32_e32 v72, 0x1000, v97
	s_load_b128 s[8:11], s[4:5], 0x0
	s_clause 0x4
	global_load_b64 v[4:5], v97, s[12:13]
	global_load_b64 v[6:7], v97, s[12:13] offset:864
	global_load_b64 v[8:9], v97, s[12:13] offset:1728
	;; [unrolled: 1-line block ×4, first 2 shown]
	s_waitcnt lgkmcnt(0)
	v_mad_u64_u32 v[0:1], null, s10, v80, 0
	v_mad_u64_u32 v[2:3], null, s8, v98, 0
	s_mul_i32 s4, s9, 0x360
	s_mul_hi_u32 s5, s8, 0x360
	s_delay_alu instid0(SALU_CYCLE_1) | instskip(NEXT) | instid1(VALU_DEP_1)
	s_add_i32 s5, s5, s4
	v_mad_u64_u32 v[14:15], null, s11, v80, v[1:2]
	v_add_co_u32 v15, s2, 0x1000, v20
	s_delay_alu instid0(VALU_DEP_1)
	v_add_co_ci_u32_e64 v16, s2, 0, v21, s2
	s_clause 0x3
	global_load_b64 v[22:23], v[15:16], off offset:224
	global_load_b64 v[24:25], v[15:16], off offset:1088
	;; [unrolled: 1-line block ×4, first 2 shown]
	v_mov_b32_e32 v1, v14
	global_load_b64 v[14:15], v[15:16], off offset:3680
	v_lshlrev_b64 v[0:1], 3, v[0:1]
	s_waitcnt vmcnt(9)
	v_mad_u64_u32 v[17:18], null, s9, v98, v[3:4]
	v_add_co_u32 v18, s2, 0x2000, v20
	s_delay_alu instid0(VALU_DEP_1) | instskip(SKIP_1) | instid1(VALU_DEP_4)
	v_add_co_ci_u32_e64 v19, s2, 0, v21, s2
	v_add_co_u32 v20, s2, 0x3000, v20
	v_mov_b32_e32 v3, v17
	v_add_co_ci_u32_e64 v21, s2, 0, v21, s2
	v_add_co_u32 v0, s2, s6, v0
	s_delay_alu instid0(VALU_DEP_3)
	v_lshlrev_b64 v[2:3], 3, v[2:3]
	v_add_co_ci_u32_e64 v1, s2, s7, v1, s2
	s_mul_i32 s6, s8, 0x360
	s_clause 0x4
	global_load_b64 v[30:31], v[18:19], off offset:448
	global_load_b64 v[32:33], v[18:19], off offset:1312
	;; [unrolled: 1-line block ×5, first 2 shown]
	v_add_co_u32 v0, s2, v0, v2
	s_delay_alu instid0(VALU_DEP_1) | instskip(NEXT) | instid1(VALU_DEP_2)
	v_add_co_ci_u32_e64 v1, s2, v1, v3, s2
	v_add_co_u32 v2, s2, v0, s6
	s_delay_alu instid0(VALU_DEP_1) | instskip(NEXT) | instid1(VALU_DEP_2)
	v_add_co_ci_u32_e64 v3, s2, s5, v1, s2
	;; [unrolled: 3-line block ×4, first 2 shown]
	v_add_co_u32 v40, s2, v38, s6
	s_delay_alu instid0(VALU_DEP_1)
	v_add_co_ci_u32_e64 v41, s2, s5, v39, s2
	s_clause 0x3
	global_load_b64 v[0:1], v[0:1], off
	global_load_b64 v[2:3], v[2:3], off
	;; [unrolled: 1-line block ×4, first 2 shown]
	v_add_co_u32 v42, s2, v40, s6
	s_delay_alu instid0(VALU_DEP_1) | instskip(SKIP_2) | instid1(VALU_DEP_1)
	v_add_co_ci_u32_e64 v43, s2, s5, v41, s2
	global_load_b64 v[40:41], v[40:41], off
	v_add_co_u32 v44, s2, v42, s6
	v_add_co_ci_u32_e64 v45, s2, s5, v43, s2
	global_load_b64 v[42:43], v[42:43], off
	v_add_co_u32 v46, s2, v44, s6
	s_delay_alu instid0(VALU_DEP_1) | instskip(SKIP_2) | instid1(VALU_DEP_1)
	v_add_co_ci_u32_e64 v47, s2, s5, v45, s2
	global_load_b64 v[44:45], v[44:45], off
	v_add_co_u32 v48, s2, v46, s6
	v_add_co_ci_u32_e64 v49, s2, s5, v47, s2
	global_load_b64 v[46:47], v[46:47], off
	;; [unrolled: 7-line block ×6, first 2 shown]
	s_clause 0x1
	global_load_b64 v[66:67], v[20:21], off offset:672
	global_load_b64 v[20:21], v[20:21], off offset:1536
	global_load_b64 v[64:65], v[64:65], off
	v_add_nc_u32_e32 v74, 0x2000, v97
	v_add_nc_u32_e32 v73, 0x1800, v97
	s_waitcnt vmcnt(18)
	v_mul_f32_e32 v69, v0, v5
	s_waitcnt vmcnt(17)
	v_dual_mul_f32 v68, v1, v5 :: v_dual_mul_f32 v5, v3, v7
	v_add_nc_u32_e32 v76, 0x2c00, v97
	s_delay_alu instid0(VALU_DEP_3) | instskip(SKIP_1) | instid1(VALU_DEP_4)
	v_fma_f32 v69, v1, v4, -v69
	v_mul_f32_e32 v1, v2, v7
	v_fmac_f32_e32 v5, v2, v6
	v_dual_fmac_f32 v68, v0, v4 :: v_dual_add_nc_u32 v71, 0xc00, v97
	s_waitcnt vmcnt(15)
	v_dual_mul_f32 v0, v17, v9 :: v_dual_mul_f32 v7, v38, v11
	v_mul_f32_e32 v4, v16, v9
	v_mul_f32_e32 v2, v39, v11
	v_fma_f32 v6, v3, v6, -v1
	s_delay_alu instid0(VALU_DEP_4) | instskip(NEXT) | instid1(VALU_DEP_4)
	v_dual_fmac_f32 v0, v16, v8 :: v_dual_add_nc_u32 v75, 0x2800, v97
	v_fma_f32 v1, v17, v8, -v4
	s_delay_alu instid0(VALU_DEP_4)
	v_fmac_f32_e32 v2, v38, v10
	v_fma_f32 v3, v39, v10, -v7
	s_waitcnt vmcnt(14)
	v_mul_f32_e32 v7, v40, v13
	ds_store_2addr_b64 v97, v[68:69], v[5:6] offset1:108
	s_waitcnt vmcnt(13)
	v_mul_f32_e32 v6, v43, v23
	s_waitcnt vmcnt(11)
	v_mul_f32_e32 v8, v46, v27
	ds_store_2addr_b64 v70, v[0:1], v[2:3] offset0:88 offset1:196
	v_dual_mul_f32 v1, v42, v23 :: v_dual_mul_f32 v0, v45, v25
	v_dual_fmac_f32 v6, v42, v22 :: v_dual_mul_f32 v3, v44, v25
	s_waitcnt vmcnt(10)
	v_dual_mul_f32 v2, v47, v27 :: v_dual_mul_f32 v9, v48, v29
	v_mul_f32_e32 v4, v41, v13
	v_fma_f32 v5, v41, v12, -v7
	v_fma_f32 v7, v43, v22, -v1
	v_fmac_f32_e32 v0, v44, v24
	v_fma_f32 v1, v45, v24, -v3
	v_fmac_f32_e32 v2, v46, v26
	v_fma_f32 v9, v49, v28, -v9
	s_waitcnt vmcnt(5)
	v_mul_f32_e32 v11, v58, v37
	v_mul_f32_e32 v10, v59, v37
	s_delay_alu instid0(VALU_DEP_2) | instskip(SKIP_1) | instid1(VALU_DEP_2)
	v_fma_f32 v11, v59, v36, -v11
	s_waitcnt vmcnt(4)
	v_dual_fmac_f32 v10, v58, v36 :: v_dual_mul_f32 v13, v60, v19
	s_waitcnt vmcnt(0)
	v_mul_f32_e32 v17, v64, v21
	v_fma_f32 v3, v47, v26, -v8
	v_mul_f32_e32 v8, v49, v29
	v_mul_f32_e32 v16, v65, v21
	v_fma_f32 v13, v61, v18, -v13
	v_fma_f32 v17, v65, v20, -v17
	ds_store_2addr_b64 v72, v[0:1], v[2:3] offset0:136 offset1:244
	v_dual_mul_f32 v1, v50, v15 :: v_dual_fmac_f32 v4, v40, v12
	v_mul_f32_e32 v3, v52, v31
	v_mul_f32_e32 v0, v53, v31
	;; [unrolled: 1-line block ×3, first 2 shown]
	v_fmac_f32_e32 v8, v48, v28
	ds_store_2addr_b64 v71, v[4:5], v[6:7] offset0:48 offset1:156
	v_dual_mul_f32 v7, v54, v33 :: v_dual_mul_f32 v4, v51, v15
	v_mul_f32_e32 v15, v62, v67
	v_fma_f32 v5, v51, v14, -v1
	v_fma_f32 v1, v53, v30, -v3
	v_mul_f32_e32 v6, v57, v35
	v_fma_f32 v3, v55, v32, -v7
	v_dual_mul_f32 v7, v56, v35 :: v_dual_fmac_f32 v4, v50, v14
	v_mul_f32_e32 v12, v61, v19
	v_mul_f32_e32 v14, v63, v67
	v_fmac_f32_e32 v0, v52, v30
	v_fmac_f32_e32 v2, v54, v32
	;; [unrolled: 1-line block ×3, first 2 shown]
	v_fma_f32 v7, v57, v34, -v7
	v_fmac_f32_e32 v12, v60, v18
	v_fmac_f32_e32 v14, v62, v66
	v_fma_f32 v15, v63, v66, -v15
	v_fmac_f32_e32 v16, v64, v20
	ds_store_2addr_b64 v73, v[8:9], v[4:5] offset0:96 offset1:204
	ds_store_2addr_b64 v74, v[0:1], v[2:3] offset0:56 offset1:164
	;; [unrolled: 1-line block ×4, first 2 shown]
	ds_store_b64 v97, v[16:17] offset:13824
.LBB0_3:
	s_or_b32 exec_lo, exec_lo, s3
	s_clause 0x1
	s_load_b64 s[2:3], s[0:1], 0x20
	s_load_b64 s[0:1], s[0:1], 0x8
	v_mov_b32_e32 v0, 0
	v_mov_b32_e32 v1, 0
	s_waitcnt lgkmcnt(0)
	s_barrier
	buffer_gl0_inv
                                        ; implicit-def: $vgpr26
                                        ; implicit-def: $vgpr18
                                        ; implicit-def: $vgpr12
                                        ; implicit-def: $vgpr8
                                        ; implicit-def: $vgpr40
                                        ; implicit-def: $vgpr38
                                        ; implicit-def: $vgpr30
                                        ; implicit-def: $vgpr34
                                        ; kill: def $vgpr2 killed $sgpr0 killed $exec
	s_and_saveexec_b32 s4, vcc_lo
	s_cbranch_execz .LBB0_5
; %bb.4:
	v_add_nc_u32_e32 v4, 0x400, v97
	v_add_nc_u32_e32 v5, 0xc00, v97
	;; [unrolled: 1-line block ×3, first 2 shown]
	ds_load_2addr_b64 v[0:3], v97 offset1:108
	v_add_nc_u32_e32 v7, 0x2800, v97
	ds_load_2addr_b64 v[32:35], v4 offset0:88 offset1:196
	ds_load_2addr_b64 v[28:31], v5 offset0:48 offset1:156
	v_add_nc_u32_e32 v4, 0x1800, v97
	v_add_nc_u32_e32 v5, 0x2000, v97
	;; [unrolled: 1-line block ×3, first 2 shown]
	ds_load_2addr_b64 v[36:39], v6 offset0:136 offset1:244
	ds_load_2addr_b64 v[24:27], v4 offset0:96 offset1:204
	;; [unrolled: 1-line block ×5, first 2 shown]
	ds_load_b64 v[40:41], v97 offset:13824
.LBB0_5:
	s_or_b32 exec_lo, exec_lo, s4
	s_waitcnt lgkmcnt(0)
	v_dual_sub_f32 v46, v3, v41 :: v_dual_sub_f32 v47, v2, v40
	v_dual_add_f32 v50, v40, v2 :: v_dual_add_f32 v51, v41, v3
	v_dual_sub_f32 v48, v33, v11 :: v_dual_add_f32 v53, v11, v33
	s_delay_alu instid0(VALU_DEP_3) | instskip(SKIP_2) | instid1(VALU_DEP_3)
	v_dual_mul_f32 v94, 0xbf7ee86f, v46 :: v_dual_mul_f32 v103, 0xbf7ee86f, v47
	v_dual_mul_f32 v56, 0xbeb8f4ab, v46 :: v_dual_mul_f32 v63, 0xbeb8f4ab, v47
	;; [unrolled: 1-line block ×3, first 2 shown]
	v_dual_fmamk_f32 v22, v50, 0x3dbcf732, v94 :: v_dual_sub_f32 v49, v32, v10
	s_delay_alu instid0(VALU_DEP_3) | instskip(SKIP_1) | instid1(VALU_DEP_4)
	v_fma_f32 v5, 0x3f6eb680, v51, -v63
	v_mul_f32_e32 v59, 0xbf2c7751, v48
	v_fma_f32 v7, 0x3f3d2fb0, v51, -v72
	v_fmamk_f32 v4, v50, 0x3f6eb680, v56
	v_mul_f32_e32 v62, 0xbf2c7751, v49
	v_dual_add_f32 v5, v5, v1 :: v_dual_fmamk_f32 v6, v50, 0x3f3d2fb0, v67
	s_delay_alu instid0(VALU_DEP_4) | instskip(NEXT) | instid1(VALU_DEP_4)
	v_add_f32_e32 v7, v7, v1
	v_dual_mul_f32 v77, 0xbf65296c, v46 :: v_dual_add_f32 v4, v4, v0
	s_delay_alu instid0(VALU_DEP_3) | instskip(SKIP_3) | instid1(VALU_DEP_4)
	v_dual_mul_f32 v87, 0xbf65296c, v47 :: v_dual_add_f32 v6, v6, v0
	v_fma_f32 v43, 0x3f3d2fb0, v53, -v62
	v_add_f32_e32 v52, v10, v32
	v_dual_add_f32 v22, v22, v0 :: v_dual_mul_f32 v79, 0xbf7ee86f, v49
	v_fma_f32 v21, 0x3ee437d1, v51, -v87
	v_fmamk_f32 v20, v50, 0x3ee437d1, v77
	v_dual_mul_f32 v86, 0xbf4c4adb, v48 :: v_dual_mul_f32 v95, 0xbf4c4adb, v49
	v_dual_add_f32 v5, v43, v5 :: v_dual_fmamk_f32 v42, v52, 0x3f3d2fb0, v59
	v_sub_f32_e32 v129, v35, v9
	v_fma_f32 v23, 0x3dbcf732, v51, -v103
	v_dual_add_f32 v21, v21, v1 :: v_dual_add_f32 v20, v20, v0
	v_fma_f32 v45, 0x3dbcf732, v53, -v79
	v_mul_f32_e32 v74, 0xbf7ee86f, v48
	v_dual_add_f32 v4, v42, v4 :: v_dual_mul_f32 v113, 0xbe3c28d5, v49
	v_dual_fmamk_f32 v42, v52, 0xbf1a4643, v86 :: v_dual_add_f32 v55, v9, v35
	v_add_f32_e32 v23, v23, v1
	v_dual_add_f32 v7, v45, v7 :: v_dual_mul_f32 v108, 0xbe3c28d5, v48
	s_delay_alu instid0(VALU_DEP_3)
	v_add_f32_e32 v20, v42, v20
	v_fma_f32 v42, 0xbf1a4643, v53, -v95
	v_fmamk_f32 v44, v52, 0x3dbcf732, v74
	v_sub_f32_e32 v134, v29, v15
	v_sub_f32_e32 v130, v34, v8
	v_dual_add_f32 v54, v8, v34 :: v_dual_mul_f32 v93, 0x3e3c28d5, v129
	s_delay_alu instid0(VALU_DEP_4)
	v_dual_add_f32 v21, v42, v21 :: v_dual_add_f32 v6, v44, v6
	v_mul_f32_e32 v83, 0xbf4c4adb, v129
	v_fma_f32 v44, 0xbf7ba420, v53, -v113
	v_mul_f32_e32 v69, 0xbf7ee86f, v134
	v_mul_f32_e32 v88, 0xbf4c4adb, v130
	;; [unrolled: 1-line block ×3, first 2 shown]
	v_dual_mul_f32 v104, 0x3e3c28d5, v130 :: v_dual_add_f32 v57, v14, v28
	v_add_f32_e32 v23, v44, v23
	s_delay_alu instid0(VALU_DEP_4) | instskip(SKIP_2) | instid1(VALU_DEP_3)
	v_fma_f32 v44, 0xbf1a4643, v55, -v88
	v_dual_mul_f32 v64, 0xbf65296c, v129 :: v_dual_sub_f32 v135, v28, v14
	v_fmamk_f32 v43, v52, 0xbf7ba420, v108
	v_dual_mul_f32 v114, 0x3f763a35, v129 :: v_dual_add_f32 v7, v44, v7
	s_delay_alu instid0(VALU_DEP_3) | instskip(SKIP_1) | instid1(VALU_DEP_4)
	v_fmamk_f32 v42, v54, 0x3ee437d1, v64
	v_add_f32_e32 v58, v15, v29
	v_dual_add_f32 v22, v43, v22 :: v_dual_fmamk_f32 v43, v54, 0xbf1a4643, v83
	s_delay_alu instid0(VALU_DEP_3) | instskip(SKIP_4) | instid1(VALU_DEP_4)
	v_dual_mul_f32 v73, 0xbf7ee86f, v135 :: v_dual_add_f32 v4, v42, v4
	v_fma_f32 v42, 0x3ee437d1, v55, -v68
	v_mul_f32_e32 v111, 0x3f763a35, v135
	v_sub_f32_e32 v141, v31, v13
	v_dual_fmamk_f32 v45, v54, 0xbf7ba420, v93 :: v_dual_add_f32 v6, v43, v6
	v_add_f32_e32 v5, v42, v5
	v_fma_f32 v42, 0xbf7ba420, v55, -v104
	v_sub_f32_e32 v143, v30, v12
	v_add_f32_e32 v61, v13, v31
	v_mul_f32_e32 v125, 0x3eb8f4ab, v135
	v_add_f32_e32 v65, v18, v36
	v_add_f32_e32 v21, v42, v21
	v_fmamk_f32 v42, v54, 0xbe8c1d8e, v114
	v_mul_f32_e32 v102, 0x3f06c442, v143
	v_mul_f32_e32 v118, 0x3f2c7751, v143
	v_sub_f32_e32 v158, v36, v18
	v_dual_mul_f32 v126, 0xbf65296c, v143 :: v_dual_sub_f32 v159, v39, v17
	v_add_f32_e32 v22, v42, v22
	v_fma_f32 v42, 0x3dbcf732, v58, -v73
	v_dual_mul_f32 v75, 0xbf763a35, v141 :: v_dual_sub_f32 v156, v37, v19
	v_dual_mul_f32 v123, 0xbeb8f4ab, v158 :: v_dual_sub_f32 v160, v38, v16
	v_mul_f32_e32 v105, 0x3f65296c, v159
	s_delay_alu instid0(VALU_DEP_4)
	v_dual_add_f32 v5, v42, v5 :: v_dual_mul_f32 v92, 0xbe3c28d5, v135
	v_mul_f32_e32 v90, 0xbe3c28d5, v134
	v_mul_f32_e32 v100, 0x3f763a35, v134
	;; [unrolled: 1-line block ×4, first 2 shown]
	v_fma_f32 v42, 0xbf7ba420, v58, -v92
	v_mul_f32_e32 v120, 0x3f763a35, v130
	v_mul_f32_e32 v109, 0x3f2c7751, v141
	v_dual_mul_f32 v107, 0x3f763a35, v156 :: v_dual_add_f32 v66, v19, v37
	s_delay_alu instid0(VALU_DEP_4) | instskip(NEXT) | instid1(VALU_DEP_4)
	v_add_f32_e32 v7, v42, v7
	v_fma_f32 v43, 0xbe8c1d8e, v55, -v120
	v_add_f32_e32 v20, v45, v20
	v_dual_mul_f32 v128, 0xbf06c442, v156 :: v_dual_mul_f32 v133, 0xbf06c442, v158
	s_delay_alu instid0(VALU_DEP_3) | instskip(SKIP_4) | instid1(VALU_DEP_4)
	v_dual_add_f32 v70, v16, v38 :: v_dual_add_f32 v23, v43, v23
	v_dual_fmamk_f32 v43, v57, 0xbf7ba420, v90 :: v_dual_add_f32 v60, v12, v30
	v_mul_f32_e32 v85, 0xbf4c4adb, v156
	v_add_f32_e32 v76, v26, v24
	v_sub_f32_e32 v166, v25, v27
	v_add_f32_e32 v6, v43, v6
	v_fma_f32 v43, 0xbe8c1d8e, v58, -v111
	v_fmamk_f32 v44, v57, 0x3dbcf732, v69
	v_dual_sub_f32 v170, v24, v26 :: v_dual_mul_f32 v185, 0xbf763a35, v47
	v_mul_f32_e32 v101, 0xbe3c28d5, v166
	s_delay_alu instid0(VALU_DEP_3) | instskip(SKIP_3) | instid1(VALU_DEP_3)
	v_dual_add_f32 v21, v43, v21 :: v_dual_add_f32 v4, v44, v4
	v_dual_fmamk_f32 v44, v57, 0xbe8c1d8e, v100 :: v_dual_fmamk_f32 v43, v60, 0xbe8c1d8e, v75
	v_add_f32_e32 v71, v17, v39
	v_mul_f32_e32 v89, 0xbf4c4adb, v158
	v_dual_mul_f32 v91, 0xbf06c442, v159 :: v_dual_add_f32 v20, v44, v20
	v_fma_f32 v44, 0xbf59a7d5, v61, -v102
	v_fmamk_f32 v42, v57, 0x3f6eb680, v119
	v_add_f32_e32 v4, v43, v4
	v_mul_f32_e32 v115, 0xbeb8f4ab, v156
	s_delay_alu instid0(VALU_DEP_4) | instskip(NEXT) | instid1(VALU_DEP_4)
	v_dual_mul_f32 v184, 0x3f2c7751, v130 :: v_dual_add_f32 v7, v44, v7
	v_add_f32_e32 v22, v42, v22
	v_fma_f32 v42, 0x3f6eb680, v58, -v125
	s_delay_alu instid0(VALU_DEP_4)
	v_fmamk_f32 v45, v65, 0x3f6eb680, v115
	v_mul_f32_e32 v117, 0xbf7ee86f, v159
	v_mul_f32_e32 v183, 0xbf65296c, v135
	v_mul_f32_e32 v182, 0xbe3c28d5, v143
	v_add_f32_e32 v23, v42, v23
	v_fmamk_f32 v43, v60, 0xbf59a7d5, v99
	v_dual_mul_f32 v174, 0x3f7ee86f, v156 :: v_dual_mul_f32 v181, 0x3f7ee86f, v158
	v_mul_f32_e32 v131, 0x3f4c4adb, v159
	v_mul_f32_e32 v180, 0xbeb8f4ab, v160
	s_delay_alu instid0(VALU_DEP_4)
	v_add_f32_e32 v6, v43, v6
	v_fma_f32 v43, 0x3f3d2fb0, v61, -v118
	v_mul_f32_e32 v84, 0xbf763a35, v143
	v_mul_f32_e32 v121, 0x3eb8f4ab, v170
	;; [unrolled: 1-line block ×4, first 2 shown]
	v_add_f32_e32 v21, v43, v21
	v_fma_f32 v42, 0xbe8c1d8e, v61, -v84
	v_fma_f32 v43, 0x3ee437d1, v61, -v126
	v_mul_f32_e32 v110, 0x3f763a35, v158
	v_mul_f32_e32 v176, 0xbe3c28d5, v141
	s_delay_alu instid0(VALU_DEP_4) | instskip(NEXT) | instid1(VALU_DEP_4)
	v_dual_add_f32 v5, v42, v5 :: v_dual_fmamk_f32 v42, v60, 0x3f3d2fb0, v109
	v_add_f32_e32 v23, v43, v23
	v_fmamk_f32 v43, v65, 0xbe8c1d8e, v107
	v_fma_f32 v44, 0xbe8c1d8e, v66, -v110
	v_mul_f32_e32 v122, 0xbf65296c, v141
	v_dual_add_f32 v20, v42, v20 :: v_dual_mul_f32 v157, 0x3f2c7751, v170
	s_delay_alu instid0(VALU_DEP_3) | instskip(NEXT) | instid1(VALU_DEP_3)
	v_dual_add_f32 v6, v43, v6 :: v_dual_add_f32 v7, v44, v7
	v_fmamk_f32 v42, v60, 0x3ee437d1, v122
	v_fma_f32 v44, 0xbf59a7d5, v66, -v133
	v_fmamk_f32 v43, v65, 0xbf59a7d5, v128
	v_mul_f32_e32 v116, 0x3f65296c, v160
	v_dual_add_f32 v20, v45, v20 :: v_dual_fmamk_f32 v45, v70, 0xbf59a7d5, v91
	v_add_f32_e32 v22, v42, v22
	v_dual_fmamk_f32 v42, v65, 0xbf1a4643, v85 :: v_dual_add_f32 v23, v44, v23
	v_mul_f32_e32 v136, 0x3f4c4adb, v160
	s_delay_alu instid0(VALU_DEP_3) | instskip(NEXT) | instid1(VALU_DEP_3)
	v_dual_mul_f32 v179, 0x3f06c442, v48 :: v_dual_add_f32 v22, v43, v22
	v_add_f32_e32 v4, v42, v4
	v_fma_f32 v42, 0xbf1a4643, v66, -v89
	v_fma_f32 v43, 0x3ee437d1, v71, -v116
	s_barrier
	buffer_gl0_inv
	v_dual_add_f32 v4, v45, v4 :: v_dual_add_f32 v5, v42, v5
	v_fma_f32 v42, 0x3f6eb680, v66, -v123
	v_dual_mul_f32 v96, 0xbf06c442, v160 :: v_dual_add_f32 v7, v43, v7
	v_fmamk_f32 v43, v76, 0xbf7ba420, v101
	v_fmamk_f32 v44, v70, 0x3dbcf732, v117
	s_delay_alu instid0(VALU_DEP_4) | instskip(NEXT) | instid1(VALU_DEP_4)
	v_add_f32_e32 v21, v42, v21
	v_fma_f32 v42, 0xbf59a7d5, v71, -v96
	v_add_f32_e32 v78, v27, v25
	v_add_f32_e32 v81, v43, v4
	;; [unrolled: 1-line block ×3, first 2 shown]
	v_fma_f32 v43, 0xbe8c1d8e, v51, -v185
	v_add_f32_e32 v5, v42, v5
	v_fmamk_f32 v42, v70, 0x3ee437d1, v105
	v_mul_f32_e32 v106, 0xbe3c28d5, v170
	v_fma_f32 v137, 0x3f6eb680, v78, -v121
	v_add_f32_e32 v43, v43, v1
	s_delay_alu instid0(VALU_DEP_4) | instskip(NEXT) | instid1(VALU_DEP_3)
	v_dual_mul_f32 v127, 0xbf7ee86f, v160 :: v_dual_add_f32 v6, v42, v6
	v_dual_fmamk_f32 v42, v70, 0xbf1a4643, v131 :: v_dual_add_f32 v7, v137, v7
	v_mul_f32_e32 v137, 0x3f2c7751, v166
	v_fma_f32 v44, 0xbf7ba420, v78, -v106
	s_delay_alu instid0(VALU_DEP_4)
	v_fma_f32 v45, 0x3dbcf732, v71, -v127
	v_mul_f32_e32 v112, 0x3eb8f4ab, v166
	v_add_f32_e32 v22, v42, v22
	v_fma_f32 v42, 0xbf1a4643, v71, -v136
	v_add_f32_e32 v82, v44, v5
	v_add_f32_e32 v21, v45, v21
	v_fmamk_f32 v45, v76, 0x3f6eb680, v112
	v_fma_f32 v138, 0x3f3d2fb0, v78, -v157
	v_dual_add_f32 v23, v42, v23 :: v_dual_mul_f32 v186, 0x3f06c442, v49
	v_mul_f32_e32 v177, 0xbf65296c, v134
	s_delay_alu instid0(VALU_DEP_4) | instskip(NEXT) | instid1(VALU_DEP_3)
	v_dual_add_f32 v6, v45, v6 :: v_dual_mul_f32 v173, 0xbeb8f4ab, v159
	v_add_f32_e32 v23, v138, v23
	s_delay_alu instid0(VALU_DEP_4) | instskip(SKIP_1) | instid1(VALU_DEP_2)
	v_fma_f32 v45, 0xbf59a7d5, v53, -v186
	v_mul_f32_e32 v171, 0xbf4c4adb, v166
	v_add_f32_e32 v43, v45, v43
	v_fma_f32 v45, 0x3f3d2fb0, v55, -v184
	s_delay_alu instid0(VALU_DEP_1) | instskip(SKIP_1) | instid1(VALU_DEP_1)
	v_dual_mul_f32 v124, 0xbf06c442, v166 :: v_dual_add_f32 v43, v45, v43
	v_fma_f32 v45, 0x3ee437d1, v58, -v183
	v_dual_fmamk_f32 v4, v76, 0xbf59a7d5, v124 :: v_dual_add_f32 v43, v45, v43
	v_fma_f32 v45, 0xbf7ba420, v61, -v182
	v_mul_f32_e32 v132, 0xbf06c442, v170
	s_delay_alu instid0(VALU_DEP_2) | instskip(SKIP_2) | instid1(VALU_DEP_4)
	v_dual_add_f32 v4, v4, v20 :: v_dual_add_f32 v43, v45, v43
	v_fma_f32 v45, 0x3dbcf732, v66, -v181
	v_mul_f32_e32 v172, 0xbf763a35, v46
	v_fma_f32 v5, 0xbf59a7d5, v78, -v132
	s_delay_alu instid0(VALU_DEP_3) | instskip(SKIP_1) | instid1(VALU_DEP_3)
	v_dual_fmamk_f32 v42, v76, 0x3f3d2fb0, v137 :: v_dual_add_f32 v43, v45, v43
	v_fma_f32 v45, 0x3f6eb680, v71, -v180
	v_dual_add_f32 v5, v5, v21 :: v_dual_fmamk_f32 v20, v50, 0xbe8c1d8e, v172
	s_delay_alu instid0(VALU_DEP_2) | instskip(SKIP_1) | instid1(VALU_DEP_3)
	v_dual_add_f32 v22, v42, v22 :: v_dual_add_f32 v43, v45, v43
	v_fma_f32 v45, 0xbf1a4643, v78, -v175
	v_add_f32_e32 v20, v20, v0
	s_delay_alu instid0(VALU_DEP_2) | instskip(NEXT) | instid1(VALU_DEP_1)
	v_dual_fmamk_f32 v44, v52, 0xbf59a7d5, v179 :: v_dual_add_f32 v21, v45, v43
	v_add_f32_e32 v20, v44, v20
	v_fmamk_f32 v44, v54, 0x3f3d2fb0, v178
	s_delay_alu instid0(VALU_DEP_1) | instskip(SKIP_1) | instid1(VALU_DEP_1)
	v_add_f32_e32 v20, v44, v20
	v_fmamk_f32 v44, v57, 0x3ee437d1, v177
	v_add_f32_e32 v20, v44, v20
	v_fmamk_f32 v44, v60, 0xbf7ba420, v176
	s_delay_alu instid0(VALU_DEP_1) | instskip(SKIP_1) | instid1(VALU_DEP_1)
	v_add_f32_e32 v20, v44, v20
	v_fmamk_f32 v44, v65, 0x3dbcf732, v174
	;; [unrolled: 5-line block ×3, first 2 shown]
	v_add_f32_e32 v20, v44, v20
	s_and_saveexec_b32 s4, vcc_lo
	s_cbranch_execz .LBB0_7
; %bb.6:
	v_mul_f32_e32 v145, 0xbf06c442, v46
	v_mul_f32_e32 v44, 0xbf59a7d5, v51
	;; [unrolled: 1-line block ×3, first 2 shown]
	v_dual_mul_f32 v168, 0xbe3c28d5, v156 :: v_dual_mul_f32 v147, 0xbe3c28d5, v47
	s_delay_alu instid0(VALU_DEP_4) | instskip(SKIP_1) | instid1(VALU_DEP_4)
	v_fmamk_f32 v43, v50, 0xbf59a7d5, v145
	v_mul_f32_e32 v162, 0xbf1a4643, v58
	v_fmamk_f32 v142, v57, 0xbf1a4643, v163
	v_mul_f32_e32 v167, 0xbf7ba420, v66
	v_mul_f32_e32 v187, 0x3f2c7751, v159
	v_add_f32_e32 v43, v43, v0
	v_mul_f32_e32 v146, 0x3f65296c, v48
	v_mul_f32_e32 v169, 0x3f3d2fb0, v71
	v_dual_mul_f32 v148, 0x3eb8f4ab, v49 :: v_dual_mul_f32 v151, 0x3eb8f4ab, v48
	v_dual_mul_f32 v149, 0xbf06c442, v130 :: v_dual_mul_f32 v144, 0xbf06c442, v129
	s_delay_alu instid0(VALU_DEP_4) | instskip(SKIP_2) | instid1(VALU_DEP_3)
	v_fmamk_f32 v139, v52, 0x3ee437d1, v146
	v_mul_f32_e32 v152, 0x3f2c7751, v135
	v_dual_mul_f32 v190, 0xbf763a35, v166 :: v_dual_add_f32 v3, v3, v1
	v_dual_add_f32 v2, v2, v0 :: v_dual_add_f32 v43, v139, v43
	v_fmamk_f32 v42, v47, 0x3f06c442, v44
	v_fmamk_f32 v139, v135, 0xbf4c4adb, v162
	v_fmac_f32_e32 v44, 0xbf06c442, v47
	v_fmac_f32_e32 v162, 0x3f4c4adb, v135
	v_add_f32_e32 v2, v32, v2
	v_add_f32_e32 v42, v42, v1
	v_mul_f32_e32 v45, 0x3ee437d1, v53
	v_fma_f32 v145, 0xbf59a7d5, v50, -v145
	v_mul_f32_e32 v150, 0xbe3c28d5, v46
	v_add_f32_e32 v2, v34, v2
	v_add_f32_e32 v44, v44, v1
	v_fmamk_f32 v138, v49, 0xbf65296c, v45
	v_add_f32_e32 v145, v145, v0
	s_delay_alu instid0(VALU_DEP_4) | instskip(NEXT) | instid1(VALU_DEP_3)
	v_dual_add_f32 v3, v33, v3 :: v_dual_add_f32 v2, v28, v2
	v_dual_add_f32 v42, v138, v42 :: v_dual_mul_f32 v161, 0xbf7ee86f, v129
	v_mul_f32_e32 v155, 0x3dbcf732, v55
	v_dual_mul_f32 v154, 0x3f65296c, v158 :: v_dual_fmac_f32 v45, 0x3f65296c, v49
	s_delay_alu instid0(VALU_DEP_4) | instskip(NEXT) | instid1(VALU_DEP_4)
	v_add_f32_e32 v2, v30, v2
	v_dual_fmamk_f32 v138, v54, 0x3dbcf732, v161 :: v_dual_add_f32 v3, v35, v3
	s_delay_alu instid0(VALU_DEP_3) | instskip(NEXT) | instid1(VALU_DEP_2)
	v_dual_fmamk_f32 v193, v66, 0x3ee437d1, v154 :: v_dual_add_f32 v44, v45, v44
	v_add_f32_e32 v43, v138, v43
	s_delay_alu instid0(VALU_DEP_3) | instskip(NEXT) | instid1(VALU_DEP_2)
	v_add_f32_e32 v3, v29, v3
	v_add_f32_e32 v43, v142, v43
	v_fmamk_f32 v140, v130, 0x3f7ee86f, v155
	v_fmamk_f32 v142, v53, 0x3f6eb680, v148
	v_fmac_f32_e32 v155, 0xbf7ee86f, v130
	s_delay_alu instid0(VALU_DEP_3) | instskip(SKIP_2) | instid1(VALU_DEP_4)
	v_dual_add_f32 v3, v31, v3 :: v_dual_add_f32 v42, v140, v42
	v_mul_f32_e32 v165, 0xbeb8f4ab, v141
	v_fma_f32 v161, 0x3dbcf732, v54, -v161
	v_dual_add_f32 v44, v155, v44 :: v_dual_mul_f32 v155, 0x3f7ee86f, v170
	s_delay_alu instid0(VALU_DEP_4) | instskip(NEXT) | instid1(VALU_DEP_4)
	v_add_f32_e32 v42, v139, v42
	v_dual_mul_f32 v164, 0x3f6eb680, v61 :: v_dual_fmamk_f32 v139, v60, 0x3f6eb680, v165
	s_delay_alu instid0(VALU_DEP_3) | instskip(NEXT) | instid1(VALU_DEP_2)
	v_dual_add_f32 v44, v162, v44 :: v_dual_add_f32 v3, v37, v3
	v_add_f32_e32 v43, v139, v43
	v_fmamk_f32 v139, v65, 0xbf7ba420, v168
	s_delay_alu instid0(VALU_DEP_3) | instskip(NEXT) | instid1(VALU_DEP_2)
	v_add_f32_e32 v3, v39, v3
	v_dual_add_f32 v43, v139, v43 :: v_dual_mul_f32 v188, 0xbe8c1d8e, v78
	v_fmamk_f32 v139, v51, 0xbf7ba420, v147
	s_delay_alu instid0(VALU_DEP_2) | instskip(SKIP_1) | instid1(VALU_DEP_3)
	v_dual_add_f32 v3, v25, v3 :: v_dual_fmamk_f32 v140, v170, 0x3f763a35, v188
	v_fmamk_f32 v138, v143, 0x3eb8f4ab, v164
	v_add_f32_e32 v139, v139, v1
	s_delay_alu instid0(VALU_DEP_2) | instskip(NEXT) | instid1(VALU_DEP_1)
	v_dual_add_f32 v3, v27, v3 :: v_dual_add_f32 v42, v138, v42
	v_dual_fmamk_f32 v138, v158, 0x3e3c28d5, v167 :: v_dual_add_f32 v17, v17, v3
	s_delay_alu instid0(VALU_DEP_1) | instskip(NEXT) | instid1(VALU_DEP_2)
	v_add_f32_e32 v42, v138, v42
	v_dual_fmamk_f32 v138, v160, 0xbf2c7751, v169 :: v_dual_add_f32 v17, v19, v17
	s_delay_alu instid0(VALU_DEP_1) | instskip(SKIP_2) | instid1(VALU_DEP_4)
	v_add_f32_e32 v42, v138, v42
	v_fmamk_f32 v138, v70, 0x3f3d2fb0, v187
	v_fmac_f32_e32 v169, 0x3f2c7751, v160
	v_dual_fmamk_f32 v162, v78, 0x3dbcf732, v155 :: v_dual_add_f32 v13, v13, v17
	v_fma_f32 v17, 0x3f6eb680, v53, -v148
	s_delay_alu instid0(VALU_DEP_4)
	v_add_f32_e32 v189, v138, v43
	v_dual_add_f32 v43, v140, v42 :: v_dual_add_f32 v42, v142, v139
	v_fma_f32 v139, 0xbf7ba420, v50, -v150
	v_fma_f32 v140, 0x3f6eb680, v52, -v151
	;; [unrolled: 1-line block ×3, first 2 shown]
	v_dual_fmac_f32 v151, 0x3f6eb680, v52 :: v_dual_add_f32 v2, v36, v2
	s_delay_alu instid0(VALU_DEP_4) | instskip(SKIP_1) | instid1(VALU_DEP_3)
	v_dual_add_f32 v139, v139, v0 :: v_dual_fmac_f32 v150, 0xbf7ba420, v50
	v_dual_fmac_f32 v144, 0xbf59a7d5, v54 :: v_dual_add_f32 v13, v15, v13
	v_add_f32_e32 v2, v38, v2
	s_delay_alu instid0(VALU_DEP_3) | instskip(SKIP_3) | instid1(VALU_DEP_4)
	v_dual_add_f32 v140, v140, v139 :: v_dual_mul_f32 v139, 0x3f2c7751, v134
	v_fmamk_f32 v191, v76, 0xbe8c1d8e, v190
	v_fmac_f32_e32 v167, 0xbe3c28d5, v158
	v_mul_f32_e32 v158, 0xbf2c7751, v158
	v_add_f32_e32 v142, v142, v140
	v_fma_f32 v194, 0x3f3d2fb0, v57, -v139
	v_fmamk_f32 v138, v55, 0xbf59a7d5, v149
	v_dual_fmac_f32 v139, 0x3f3d2fb0, v57 :: v_dual_add_f32 v2, v24, v2
	v_fma_f32 v15, 0xbf59a7d5, v55, -v149
	s_delay_alu instid0(VALU_DEP_3) | instskip(SKIP_2) | instid1(VALU_DEP_3)
	v_dual_add_f32 v9, v9, v13 :: v_dual_add_f32 v42, v138, v42
	v_fmamk_f32 v138, v58, 0x3f3d2fb0, v152
	v_fma_f32 v13, 0x3f3d2fb0, v58, -v152
	v_add_f32_e32 v9, v11, v9
	v_add_f32_e32 v11, v150, v0
	s_delay_alu instid0(VALU_DEP_4) | instskip(NEXT) | instid1(VALU_DEP_3)
	v_dual_add_f32 v42, v138, v42 :: v_dual_mul_f32 v153, 0xbf4c4adb, v143
	v_add_f32_e32 v9, v41, v9
	s_delay_alu instid0(VALU_DEP_2) | instskip(NEXT) | instid1(VALU_DEP_1)
	v_dual_add_f32 v11, v151, v11 :: v_dual_fmamk_f32 v138, v61, 0xbf1a4643, v153
	v_dual_add_f32 v11, v144, v11 :: v_dual_add_f32 v192, v138, v42
	v_dual_add_f32 v42, v191, v189 :: v_dual_add_f32 v191, v194, v142
	v_fma_f32 v194, 0x3ee437d1, v52, -v146
	s_delay_alu instid0(VALU_DEP_3) | instskip(NEXT) | instid1(VALU_DEP_4)
	v_dual_mul_f32 v146, 0xbf763a35, v159 :: v_dual_add_f32 v189, v193, v192
	v_dual_add_f32 v11, v139, v11 :: v_dual_add_f32 v2, v26, v2
	s_delay_alu instid0(VALU_DEP_3) | instskip(NEXT) | instid1(VALU_DEP_1)
	v_dual_add_f32 v145, v194, v145 :: v_dual_mul_f32 v140, 0xbf763a35, v160
	v_add_f32_e32 v145, v161, v145
	s_delay_alu instid0(VALU_DEP_2) | instskip(SKIP_1) | instid1(VALU_DEP_2)
	v_fmamk_f32 v193, v71, 0xbe8c1d8e, v140
	v_fma_f32 v161, 0xbf1a4643, v57, -v163
	v_dual_mul_f32 v142, 0x3f65296c, v156 :: v_dual_add_f32 v189, v193, v189
	v_fmac_f32_e32 v164, 0xbeb8f4ab, v143
	s_delay_alu instid0(VALU_DEP_1) | instskip(SKIP_2) | instid1(VALU_DEP_3)
	v_add_f32_e32 v44, v164, v44
	v_mul_f32_e32 v138, 0xbf4c4adb, v141
	v_fma_f32 v164, 0xbf7ba420, v65, -v168
	v_add_f32_e32 v167, v167, v44
	s_delay_alu instid0(VALU_DEP_3) | instskip(NEXT) | instid1(VALU_DEP_1)
	v_fma_f32 v192, 0xbf1a4643, v60, -v138
	v_dual_fmac_f32 v138, 0xbf1a4643, v60 :: v_dual_add_f32 v191, v192, v191
	v_fma_f32 v192, 0x3ee437d1, v65, -v142
	s_delay_alu instid0(VALU_DEP_2) | instskip(NEXT) | instid1(VALU_DEP_2)
	v_add_f32_e32 v11, v138, v11
	v_add_f32_e32 v45, v192, v191
	v_fma_f32 v191, 0xbe8c1d8e, v70, -v146
	s_delay_alu instid0(VALU_DEP_1) | instskip(SKIP_4) | instid1(VALU_DEP_3)
	v_add_f32_e32 v163, v191, v45
	v_add_f32_e32 v45, v161, v145
	v_fma_f32 v161, 0x3f6eb680, v60, -v165
	v_mul_f32_e32 v145, 0x3f7ee86f, v166
	v_fmac_f32_e32 v142, 0x3ee437d1, v65
	v_dual_add_f32 v2, v16, v2 :: v_dual_add_f32 v161, v161, v45
	s_delay_alu instid0(VALU_DEP_3) | instskip(NEXT) | instid1(VALU_DEP_3)
	v_fma_f32 v165, 0x3dbcf732, v76, -v145
	v_dual_add_f32 v11, v142, v11 :: v_dual_fmac_f32 v146, 0xbe8c1d8e, v70
	s_delay_alu instid0(VALU_DEP_2)
	v_dual_fmac_f32 v145, 0x3dbcf732, v76 :: v_dual_add_f32 v44, v165, v163
	v_add_f32_e32 v163, v169, v167
	v_mul_f32_e32 v167, 0x3f763a35, v49
	v_add_f32_e32 v45, v162, v189
	v_add_f32_e32 v162, v164, v161
	v_fma_f32 v164, 0x3f3d2fb0, v70, -v187
	v_mul_f32_e32 v161, 0xbf4c4adb, v47
	v_fma_f32 v165, 0xbe8c1d8e, v76, -v190
	v_mul_f32_e32 v169, 0xbf06c442, v135
	s_delay_alu instid0(VALU_DEP_4) | instskip(SKIP_2) | instid1(VALU_DEP_2)
	v_dual_fmamk_f32 v135, v66, 0x3f3d2fb0, v158 :: v_dual_add_f32 v164, v164, v162
	v_mul_f32_e32 v162, 0xbf4c4adb, v46
	v_dual_fmamk_f32 v168, v51, 0xbf1a4643, v161 :: v_dual_add_f32 v11, v146, v11
	v_fma_f32 v49, 0xbf1a4643, v50, -v162
	s_delay_alu instid0(VALU_DEP_1) | instskip(NEXT) | instid1(VALU_DEP_1)
	v_dual_add_f32 v49, v49, v0 :: v_dual_fmac_f32 v188, 0xbf763a35, v170
	v_add_f32_e32 v47, v188, v163
	s_delay_alu instid0(VALU_DEP_4) | instskip(SKIP_3) | instid1(VALU_DEP_4)
	v_dual_mul_f32 v163, 0x3f763a35, v48 :: v_dual_add_f32 v48, v168, v1
	v_mul_f32_e32 v168, 0xbeb8f4ab, v130
	v_add_f32_e32 v46, v165, v164
	v_fmamk_f32 v165, v53, 0xbe8c1d8e, v167
	v_fma_f32 v130, 0xbe8c1d8e, v52, -v163
	v_mul_f32_e32 v164, 0xbeb8f4ab, v129
	v_fmac_f32_e32 v163, 0xbe8c1d8e, v52
	v_fmac_f32_e32 v162, 0xbf1a4643, v50
	s_delay_alu instid0(VALU_DEP_4) | instskip(NEXT) | instid1(VALU_DEP_4)
	v_dual_add_f32 v48, v165, v48 :: v_dual_add_f32 v49, v130, v49
	v_fma_f32 v130, 0x3f6eb680, v54, -v164
	v_mul_f32_e32 v165, 0xbf06c442, v134
	s_delay_alu instid0(VALU_DEP_2) | instskip(NEXT) | instid1(VALU_DEP_2)
	v_add_f32_e32 v49, v130, v49
	v_fma_f32 v130, 0xbf59a7d5, v57, -v165
	s_delay_alu instid0(VALU_DEP_1) | instskip(SKIP_1) | instid1(VALU_DEP_1)
	v_add_f32_e32 v49, v130, v49
	v_fmamk_f32 v129, v55, 0x3f6eb680, v168
	v_dual_add_f32 v48, v129, v48 :: v_dual_fmamk_f32 v129, v58, 0xbf59a7d5, v169
	v_mul_f32_e32 v143, 0x3f7ee86f, v143
	s_delay_alu instid0(VALU_DEP_2) | instskip(NEXT) | instid1(VALU_DEP_2)
	v_dual_fmac_f32 v165, 0xbf59a7d5, v57 :: v_dual_add_f32 v48, v129, v48
	v_fmamk_f32 v134, v61, 0x3dbcf732, v143
	v_dual_mul_f32 v129, 0xbf2c7751, v156 :: v_dual_add_f32 v2, v18, v2
	v_fma_f32 v18, 0xbf7ba420, v51, -v147
	s_delay_alu instid0(VALU_DEP_3) | instskip(NEXT) | instid1(VALU_DEP_3)
	v_add_f32_e32 v48, v134, v48
	v_fma_f32 v156, 0x3f3d2fb0, v65, -v129
	v_fmac_f32_e32 v129, 0x3f3d2fb0, v65
	v_mul_f32_e32 v134, 0xbe3c28d5, v160
	v_mul_f32_e32 v160, 0xbe8c1d8e, v51
	v_add_f32_e32 v2, v12, v2
	v_add_f32_e32 v12, v18, v1
	s_delay_alu instid0(VALU_DEP_3) | instskip(SKIP_3) | instid1(VALU_DEP_4)
	v_add_f32_e32 v160, v185, v160
	v_dual_add_f32 v48, v135, v48 :: v_dual_mul_f32 v141, 0x3f7ee86f, v141
	v_mul_f32_e32 v135, 0x3f65296c, v170
	v_dual_mul_f32 v170, 0xbf59a7d5, v53 :: v_dual_mul_f32 v185, 0xbf59a7d5, v52
	v_add_f32_e32 v160, v160, v1
	s_delay_alu instid0(VALU_DEP_4) | instskip(SKIP_1) | instid1(VALU_DEP_2)
	v_fma_f32 v130, 0x3dbcf732, v60, -v141
	v_add_f32_e32 v14, v14, v2
	v_dual_add_f32 v12, v17, v12 :: v_dual_add_f32 v49, v130, v49
	s_delay_alu instid0(VALU_DEP_2) | instskip(NEXT) | instid1(VALU_DEP_2)
	v_add_f32_e32 v8, v8, v14
	v_add_f32_e32 v12, v15, v12
	v_fma_f32 v15, 0x3ee437d1, v78, -v135
	s_delay_alu instid0(VALU_DEP_4)
	v_dual_add_f32 v49, v156, v49 :: v_dual_mul_f32 v130, 0xbe3c28d5, v159
	v_fmamk_f32 v159, v71, 0xbf7ba420, v134
	v_fma_f32 v14, 0xbf7ba420, v71, -v134
	v_add_f32_e32 v8, v10, v8
	v_add_f32_e32 v10, v13, v12
	v_fma_f32 v156, 0xbf7ba420, v70, -v130
	v_dual_add_f32 v48, v159, v48 :: v_dual_fmamk_f32 v159, v78, 0x3ee437d1, v135
	v_fma_f32 v12, 0xbf1a4643, v61, -v153
	v_fma_f32 v13, 0xbf1a4643, v51, -v161
	s_delay_alu instid0(VALU_DEP_4) | instskip(NEXT) | instid1(VALU_DEP_4)
	v_dual_add_f32 v187, v156, v49 :: v_dual_fmac_f32 v130, 0xbf7ba420, v70
	v_add_f32_e32 v49, v159, v48
	v_mul_f32_e32 v159, 0xbe8c1d8e, v50
	v_mul_f32_e32 v156, 0x3f65296c, v166
	v_add_f32_e32 v48, v186, v170
	v_fmac_f32_e32 v164, 0x3f6eb680, v54
	s_delay_alu instid0(VALU_DEP_4) | instskip(SKIP_3) | instid1(VALU_DEP_3)
	v_dual_add_f32 v10, v12, v10 :: v_dual_sub_f32 v159, v159, v172
	v_mul_f32_e32 v166, 0x3f3d2fb0, v55
	v_dual_sub_f32 v172, v185, v179 :: v_dual_mul_f32 v179, 0x3f3d2fb0, v54
	v_add_f32_e32 v48, v48, v160
	v_dual_add_f32 v159, v159, v0 :: v_dual_add_f32 v160, v184, v166
	v_mul_f32_e32 v166, 0x3ee437d1, v58
	v_fma_f32 v170, 0x3ee437d1, v76, -v156
	v_fma_f32 v12, 0x3ee437d1, v66, -v154
	s_delay_alu instid0(VALU_DEP_4) | instskip(SKIP_4) | instid1(VALU_DEP_4)
	v_dual_add_f32 v159, v172, v159 :: v_dual_sub_f32 v172, v179, v178
	v_mul_f32_e32 v178, 0x3ee437d1, v57
	v_add_f32_e32 v8, v40, v8
	v_fmac_f32_e32 v156, 0x3ee437d1, v76
	v_add_f32_e32 v10, v12, v10
	v_dual_add_f32 v159, v172, v159 :: v_dual_sub_f32 v172, v178, v177
	v_mul_f32_e32 v177, 0xbf7ba420, v60
	v_add_f32_e32 v48, v160, v48
	v_add_f32_e32 v160, v183, v166
	v_fma_f32 v12, 0xbe8c1d8e, v53, -v167
	s_delay_alu instid0(VALU_DEP_4) | instskip(SKIP_3) | instid1(VALU_DEP_4)
	v_dual_add_f32 v159, v172, v159 :: v_dual_sub_f32 v172, v177, v176
	v_mul_f32_e32 v166, 0xbf7ba420, v61
	v_dual_mul_f32 v176, 0x3dbcf732, v65 :: v_dual_mul_f32 v177, 0x3dbcf732, v51
	v_add_f32_e32 v48, v160, v48
	v_add_f32_e32 v159, v172, v159
	s_delay_alu instid0(VALU_DEP_3) | instskip(NEXT) | instid1(VALU_DEP_4)
	v_dual_fmac_f32 v141, 0x3dbcf732, v60 :: v_dual_sub_f32 v172, v176, v174
	v_dual_add_f32 v160, v182, v166 :: v_dual_add_f32 v103, v103, v177
	s_delay_alu instid0(VALU_DEP_2) | instskip(NEXT) | instid1(VALU_DEP_2)
	v_dual_mul_f32 v166, 0x3dbcf732, v66 :: v_dual_add_f32 v159, v172, v159
	v_dual_add_f32 v103, v103, v1 :: v_dual_add_f32 v48, v160, v48
	s_delay_alu instid0(VALU_DEP_2) | instskip(NEXT) | instid1(VALU_DEP_1)
	v_add_f32_e32 v160, v181, v166
	v_add_f32_e32 v160, v160, v48
	;; [unrolled: 1-line block ×3, first 2 shown]
	v_mul_f32_e32 v170, 0xbf7ba420, v53
	s_delay_alu instid0(VALU_DEP_1) | instskip(SKIP_1) | instid1(VALU_DEP_2)
	v_dual_add_f32 v113, v113, v170 :: v_dual_mul_f32 v170, 0xbe8c1d8e, v55
	v_mul_f32_e32 v166, 0x3f6eb680, v71
	v_add_f32_e32 v103, v113, v103
	s_delay_alu instid0(VALU_DEP_3) | instskip(SKIP_1) | instid1(VALU_DEP_2)
	v_add_f32_e32 v113, v120, v170
	v_mul_f32_e32 v170, 0x3f6eb680, v58
	v_dual_add_f32 v166, v180, v166 :: v_dual_add_f32 v103, v113, v103
	v_mul_f32_e32 v113, 0x3dbcf732, v50
	s_delay_alu instid0(VALU_DEP_3) | instskip(NEXT) | instid1(VALU_DEP_2)
	v_dual_add_f32 v125, v125, v170 :: v_dual_mul_f32 v170, 0x3ee437d1, v61
	v_sub_f32_e32 v94, v113, v94
	s_delay_alu instid0(VALU_DEP_2) | instskip(NEXT) | instid1(VALU_DEP_3)
	v_add_f32_e32 v103, v125, v103
	v_add_f32_e32 v113, v126, v170
	v_dual_add_f32 v160, v166, v160 :: v_dual_mul_f32 v125, 0xbe8c1d8e, v54
	s_delay_alu instid0(VALU_DEP_4) | instskip(NEXT) | instid1(VALU_DEP_3)
	v_add_f32_e32 v94, v94, v0
	v_dual_mul_f32 v126, 0x3ee437d1, v60 :: v_dual_add_f32 v103, v113, v103
	v_mul_f32_e32 v172, 0xbf1a4643, v78
	s_delay_alu instid0(VALU_DEP_4) | instskip(NEXT) | instid1(VALU_DEP_3)
	v_dual_sub_f32 v114, v125, v114 :: v_dual_mul_f32 v125, 0x3f6eb680, v51
	v_sub_f32_e32 v122, v126, v122
	v_mul_f32_e32 v126, 0xbf59a7d5, v65
	s_delay_alu instid0(VALU_DEP_4) | instskip(NEXT) | instid1(VALU_DEP_2)
	v_add_f32_e32 v120, v175, v172
	v_dual_add_f32 v63, v63, v125 :: v_dual_sub_f32 v126, v126, v128
	s_delay_alu instid0(VALU_DEP_2) | instskip(SKIP_1) | instid1(VALU_DEP_3)
	v_add_f32_e32 v160, v120, v160
	v_mul_f32_e32 v120, 0xbf59a7d5, v66
	v_dual_mul_f32 v166, 0x3f6eb680, v70 :: v_dual_add_f32 v63, v63, v1
	s_delay_alu instid0(VALU_DEP_1) | instskip(SKIP_2) | instid1(VALU_DEP_3)
	v_dual_add_f32 v113, v133, v120 :: v_dual_sub_f32 v166, v166, v173
	v_mul_f32_e32 v173, 0xbf1a4643, v76
	v_mul_f32_e32 v133, 0xbf1a4643, v52
	v_add_f32_e32 v103, v113, v103
	s_delay_alu instid0(VALU_DEP_4) | instskip(NEXT) | instid1(VALU_DEP_4)
	v_add_f32_e32 v159, v166, v159
	v_dual_sub_f32 v166, v173, v171 :: v_dual_mul_f32 v171, 0xbf7ba420, v52
	s_delay_alu instid0(VALU_DEP_1) | instskip(NEXT) | instid1(VALU_DEP_1)
	v_dual_mul_f32 v113, 0x3f6eb680, v57 :: v_dual_sub_f32 v108, v171, v108
	v_sub_f32_e32 v113, v113, v119
	v_mul_f32_e32 v119, 0x3f3d2fb0, v50
	v_dual_sub_f32 v86, v133, v86 :: v_dual_mul_f32 v133, 0xbe8c1d8e, v61
	s_delay_alu instid0(VALU_DEP_4) | instskip(SKIP_1) | instid1(VALU_DEP_4)
	v_add_f32_e32 v94, v108, v94
	v_mul_f32_e32 v108, 0xbf1a4643, v71
	v_sub_f32_e32 v67, v119, v67
	v_mul_f32_e32 v119, 0x3ee437d1, v70
	v_add_f32_e32 v159, v166, v159
	v_add_f32_e32 v94, v114, v94
	s_delay_alu instid0(VALU_DEP_4) | instskip(NEXT) | instid1(VALU_DEP_2)
	v_dual_mul_f32 v114, 0x3f3d2fb0, v78 :: v_dual_add_f32 v67, v67, v0
	v_dual_add_f32 v94, v113, v94 :: v_dual_mul_f32 v113, 0xbf1a4643, v53
	s_delay_alu instid0(VALU_DEP_1) | instskip(SKIP_2) | instid1(VALU_DEP_3)
	v_dual_add_f32 v94, v122, v94 :: v_dual_add_f32 v95, v95, v113
	v_mul_f32_e32 v113, 0x3ee437d1, v50
	v_mul_f32_e32 v122, 0xbf7ba420, v55
	v_add_f32_e32 v94, v126, v94
	v_mul_f32_e32 v126, 0xbe8c1d8e, v58
	s_delay_alu instid0(VALU_DEP_4) | instskip(SKIP_2) | instid1(VALU_DEP_4)
	v_dual_add_f32 v108, v136, v108 :: v_dual_sub_f32 v77, v113, v77
	v_mul_f32_e32 v113, 0xbf7ba420, v54
	v_add_f32_e32 v104, v104, v122
	v_add_f32_e32 v111, v111, v126
	s_delay_alu instid0(VALU_DEP_4) | instskip(NEXT) | instid1(VALU_DEP_4)
	v_add_f32_e32 v103, v108, v103
	v_dual_mul_f32 v108, 0x3ee437d1, v51 :: v_dual_sub_f32 v93, v113, v93
	v_dual_add_f32 v77, v77, v0 :: v_dual_mul_f32 v126, 0x3dbcf732, v53
	s_delay_alu instid0(VALU_DEP_2) | instskip(NEXT) | instid1(VALU_DEP_2)
	v_dual_mul_f32 v136, 0x3ee437d1, v55 :: v_dual_add_f32 v87, v87, v108
	v_dual_mul_f32 v108, 0x3f3d2fb0, v51 :: v_dual_add_f32 v77, v86, v77
	s_delay_alu instid0(VALU_DEP_3) | instskip(SKIP_1) | instid1(VALU_DEP_3)
	v_add_f32_e32 v79, v79, v126
	v_mul_f32_e32 v113, 0xbf7ba420, v58
	v_dual_add_f32 v87, v87, v1 :: v_dual_add_f32 v72, v72, v108
	s_delay_alu instid0(VALU_DEP_4) | instskip(SKIP_1) | instid1(VALU_DEP_3)
	v_dual_add_f32 v77, v93, v77 :: v_dual_mul_f32 v126, 0x3dbcf732, v70
	v_mul_f32_e32 v93, 0xbf59a7d5, v60
	v_add_f32_e32 v87, v95, v87
	v_mul_f32_e32 v95, 0xbf1a4643, v70
	v_mul_f32_e32 v120, 0x3f6eb680, v50
	v_add_f32_e32 v72, v72, v1
	v_add_f32_e32 v92, v92, v113
	;; [unrolled: 1-line block ×3, first 2 shown]
	v_dual_sub_f32 v95, v95, v131 :: v_dual_mul_f32 v104, 0x3f3d2fb0, v76
	v_mul_f32_e32 v131, 0x3dbcf732, v52
	v_mul_f32_e32 v113, 0x3ee437d1, v71
	s_delay_alu instid0(VALU_DEP_4) | instskip(NEXT) | instid1(VALU_DEP_4)
	v_add_f32_e32 v87, v111, v87
	v_dual_add_f32 v94, v95, v94 :: v_dual_mul_f32 v95, 0x3f3d2fb0, v61
	v_add_f32_e32 v114, v157, v114
	v_sub_f32_e32 v104, v104, v137
	v_dual_sub_f32 v74, v131, v74 :: v_dual_mul_f32 v131, 0xbf7ba420, v76
	s_delay_alu instid0(VALU_DEP_4) | instskip(NEXT) | instid1(VALU_DEP_4)
	v_add_f32_e32 v118, v118, v95
	v_add_f32_e32 v95, v114, v103
	v_mul_f32_e32 v103, 0xbf1a4643, v54
	v_add_f32_e32 v94, v104, v94
	v_mul_f32_e32 v86, 0xbf59a7d5, v78
	v_dual_mul_f32 v104, 0x3f6eb680, v66 :: v_dual_add_f32 v87, v118, v87
	s_delay_alu instid0(VALU_DEP_4)
	v_sub_f32_e32 v83, v103, v83
	v_dual_mul_f32 v103, 0x3f6eb680, v78 :: v_dual_add_f32 v72, v79, v72
	v_mul_f32_e32 v79, 0x3f6eb680, v65
	v_mul_f32_e32 v118, 0x3dbcf732, v71
	v_dual_add_f32 v67, v74, v67 :: v_dual_add_f32 v86, v132, v86
	v_mul_f32_e32 v114, 0xbf1a4643, v55
	s_delay_alu instid0(VALU_DEP_4) | instskip(NEXT) | instid1(VALU_DEP_4)
	v_dual_sub_f32 v79, v79, v115 :: v_dual_mul_f32 v108, 0x3f3d2fb0, v60
	v_dual_add_f32 v118, v127, v118 :: v_dual_mul_f32 v127, 0xbf7ba420, v57
	s_delay_alu instid0(VALU_DEP_4) | instskip(NEXT) | instid1(VALU_DEP_3)
	v_dual_mul_f32 v132, 0xbe8c1d8e, v60 :: v_dual_add_f32 v67, v83, v67
	v_sub_f32_e32 v108, v108, v109
	v_add_f32_e32 v104, v123, v104
	s_delay_alu instid0(VALU_DEP_4) | instskip(SKIP_2) | instid1(VALU_DEP_4)
	v_dual_mul_f32 v128, 0x3f3d2fb0, v52 :: v_dual_sub_f32 v83, v127, v90
	v_mul_f32_e32 v109, 0xbf1a4643, v66
	v_mul_f32_e32 v123, 0x3dbcf732, v57
	v_dual_add_f32 v87, v104, v87 :: v_dual_mul_f32 v122, 0x3f3d2fb0, v53
	s_delay_alu instid0(VALU_DEP_4) | instskip(SKIP_1) | instid1(VALU_DEP_3)
	v_dual_mul_f32 v104, 0x3dbcf732, v58 :: v_dual_add_f32 v67, v83, v67
	v_sub_f32_e32 v83, v93, v99
	v_dual_add_f32 v87, v118, v87 :: v_dual_mul_f32 v118, 0xbe8c1d8e, v57
	s_delay_alu instid0(VALU_DEP_4) | instskip(NEXT) | instid1(VALU_DEP_3)
	v_add_f32_e32 v62, v62, v122
	v_dual_add_f32 v34, v68, v136 :: v_dual_add_f32 v67, v83, v67
	s_delay_alu instid0(VALU_DEP_3) | instskip(NEXT) | instid1(VALU_DEP_4)
	v_add_f32_e32 v87, v86, v87
	v_sub_f32_e32 v100, v118, v100
	v_mul_f32_e32 v118, 0xbf59a7d5, v61
	v_add_f32_e32 v62, v62, v63
	v_mul_f32_e32 v74, 0x3f6eb680, v76
	v_dual_add_f32 v90, v116, v113 :: v_dual_add_f32 v29, v73, v104
	v_add_f32_e32 v77, v100, v77
	v_mul_f32_e32 v100, 0xbf1a4643, v65
	v_add_f32_e32 v28, v34, v62
	v_mul_f32_e32 v111, 0x3ee437d1, v54
	v_sub_f32_e32 v33, v74, v112
	v_add_f32_e32 v77, v108, v77
	s_delay_alu instid0(VALU_DEP_4) | instskip(SKIP_2) | instid1(VALU_DEP_4)
	v_dual_mul_f32 v115, 0xbf59a7d5, v70 :: v_dual_add_f32 v28, v29, v28
	v_add_f32_e32 v29, v84, v133
	v_sub_f32_e32 v31, v111, v64
	v_add_f32_e32 v77, v79, v77
	v_dual_sub_f32 v79, v126, v117 :: v_dual_add_f32 v88, v88, v114
	s_delay_alu instid0(VALU_DEP_4) | instskip(SKIP_1) | instid1(VALU_DEP_3)
	v_add_f32_e32 v28, v29, v28
	v_dual_add_f32 v29, v89, v109 :: v_dual_sub_f32 v30, v128, v59
	v_dual_add_f32 v77, v79, v77 :: v_dual_add_f32 v72, v88, v72
	v_add_f32_e32 v1, v13, v1
	s_delay_alu instid0(VALU_DEP_3) | instskip(SKIP_1) | instid1(VALU_DEP_4)
	v_add_f32_e32 v24, v29, v28
	v_sub_f32_e32 v26, v132, v75
	v_dual_sub_f32 v19, v115, v91 :: v_dual_add_f32 v72, v92, v72
	v_add_f32_e32 v92, v102, v118
	v_dual_mul_f32 v102, 0xbf7ba420, v78 :: v_dual_add_f32 v1, v12, v1
	v_fma_f32 v12, 0x3f6eb680, v55, -v168
	v_fma_f32 v13, 0xbe8c1d8e, v71, -v140
	s_delay_alu instid0(VALU_DEP_4) | instskip(SKIP_4) | instid1(VALU_DEP_4)
	v_add_f32_e32 v72, v92, v72
	v_mul_f32_e32 v92, 0xbf59a7d5, v76
	v_mul_f32_e32 v114, 0xbe8c1d8e, v65
	v_add_f32_e32 v1, v12, v1
	v_fma_f32 v12, 0xbf59a7d5, v58, -v169
	v_dual_sub_f32 v18, v131, v101 :: v_dual_sub_f32 v79, v92, v124
	s_delay_alu instid0(VALU_DEP_4) | instskip(NEXT) | instid1(VALU_DEP_3)
	v_dual_mul_f32 v108, 0xbe8c1d8e, v66 :: v_dual_sub_f32 v83, v114, v107
	v_add_f32_e32 v1, v12, v1
	v_fma_f32 v12, 0x3dbcf732, v61, -v143
	s_delay_alu instid0(VALU_DEP_4) | instskip(NEXT) | instid1(VALU_DEP_4)
	v_add_f32_e32 v86, v79, v77
	v_dual_add_f32 v108, v110, v108 :: v_dual_add_f32 v67, v83, v67
	v_add_f32_e32 v10, v13, v10
	v_fma_f32 v13, 0x3dbcf732, v78, -v155
	v_add_f32_e32 v1, v12, v1
	s_delay_alu instid0(VALU_DEP_4) | instskip(SKIP_1) | instid1(VALU_DEP_2)
	v_add_f32_e32 v72, v108, v72
	v_fma_f32 v12, 0x3f3d2fb0, v66, -v158
	v_add_f32_e32 v72, v90, v72
	v_add_f32_e32 v90, v121, v103
	s_delay_alu instid0(VALU_DEP_3) | instskip(SKIP_1) | instid1(VALU_DEP_3)
	v_dual_mul_f32 v88, 0xbf59a7d5, v71 :: v_dual_add_f32 v1, v12, v1
	v_mul_lo_u16 v12, v98, 17
	v_dual_add_f32 v93, v90, v72 :: v_dual_sub_f32 v72, v119, v105
	s_delay_alu instid0(VALU_DEP_3) | instskip(NEXT) | instid1(VALU_DEP_3)
	v_add_f32_e32 v25, v96, v88
	v_and_b32_e32 v12, 0xffff, v12
	v_dual_add_f32 v14, v14, v1 :: v_dual_add_f32 v1, v13, v10
	s_delay_alu instid0(VALU_DEP_4) | instskip(NEXT) | instid1(VALU_DEP_4)
	v_add_f32_e32 v32, v72, v67
	v_dual_add_f32 v24, v25, v24 :: v_dual_add_f32 v25, v106, v102
	s_delay_alu instid0(VALU_DEP_4) | instskip(NEXT) | instid1(VALU_DEP_3)
	v_lshlrev_b32_e32 v12, 3, v12
	v_add_f32_e32 v92, v33, v32
	v_sub_f32_e32 v32, v120, v56
	s_delay_alu instid0(VALU_DEP_4) | instskip(NEXT) | instid1(VALU_DEP_2)
	v_add_f32_e32 v3, v25, v24
	v_add_f32_e32 v32, v32, v0
	;; [unrolled: 1-line block ×3, first 2 shown]
	s_delay_alu instid0(VALU_DEP_2) | instskip(NEXT) | instid1(VALU_DEP_2)
	v_add_f32_e32 v30, v30, v32
	v_add_f32_e32 v0, v163, v0
	s_delay_alu instid0(VALU_DEP_2) | instskip(NEXT) | instid1(VALU_DEP_2)
	v_add_f32_e32 v30, v31, v30
	v_dual_sub_f32 v31, v123, v69 :: v_dual_add_f32 v0, v164, v0
	s_delay_alu instid0(VALU_DEP_1) | instskip(NEXT) | instid1(VALU_DEP_2)
	v_add_f32_e32 v28, v31, v30
	v_add_f32_e32 v0, v165, v0
	s_delay_alu instid0(VALU_DEP_2) | instskip(SKIP_1) | instid1(VALU_DEP_3)
	v_add_f32_e32 v16, v26, v28
	v_sub_f32_e32 v26, v100, v85
	v_add_f32_e32 v0, v141, v0
	s_delay_alu instid0(VALU_DEP_2) | instskip(NEXT) | instid1(VALU_DEP_2)
	v_add_f32_e32 v16, v26, v16
	v_add_f32_e32 v0, v129, v0
	s_delay_alu instid0(VALU_DEP_2) | instskip(NEXT) | instid1(VALU_DEP_1)
	v_add_f32_e32 v16, v19, v16
	v_add_f32_e32 v2, v18, v16
	s_delay_alu instid0(VALU_DEP_3) | instskip(SKIP_1) | instid1(VALU_DEP_2)
	v_add_f32_e32 v16, v130, v0
	v_dual_add_f32 v0, v145, v11 :: v_dual_add_f32 v11, v15, v14
	v_add_f32_e32 v10, v156, v16
	ds_store_2addr_b64 v12, v[8:9], v[2:3] offset1:1
	ds_store_2addr_b64 v12, v[92:93], v[86:87] offset0:2 offset1:3
	ds_store_2addr_b64 v12, v[94:95], v[159:160] offset0:4 offset1:5
	;; [unrolled: 1-line block ×7, first 2 shown]
	ds_store_b64 v12, v[81:82] offset:128
.LBB0_7:
	s_or_b32 exec_lo, exec_lo, s4
	v_add_co_u32 v52, null, 0x99, v98
	v_and_b32_e32 v24, 0xff, v98
	v_add_nc_u32_e32 v40, 0x132, v98
	v_add_nc_u32_e32 v41, 0x1cb, v98
	s_delay_alu instid0(VALU_DEP_4)
	v_and_b32_e32 v28, 0xffff, v52
	s_load_b128 s[4:7], s[2:3], 0x0
	v_mul_lo_u16 v0, 0xf1, v24
	v_and_b32_e32 v42, 0xffff, v40
	v_and_b32_e32 v43, 0xffff, v41
	v_mul_u32_u24_e32 v1, 0xf0f1, v28
	s_waitcnt lgkmcnt(0)
	v_lshrrev_b16 v53, 12, v0
	v_mul_u32_u24_e32 v0, 0xf0f1, v42
	v_mul_u32_u24_e32 v2, 0xf0f1, v43
	v_lshrrev_b32_e32 v54, 20, v1
	s_barrier
	v_mul_lo_u16 v1, v53, 17
	v_lshrrev_b32_e32 v55, 20, v0
	v_lshrrev_b32_e32 v56, 20, v2
	v_mul_lo_u16 v0, v54, 17
	buffer_gl0_inv
	v_sub_nc_u16 v1, v98, v1
	v_mul_lo_u16 v2, v55, 17
	v_mul_lo_u16 v29, 0xa1, v24
	v_sub_nc_u16 v57, v52, v0
	v_mul_lo_u16 v0, v56, 17
	v_and_b32_e32 v58, 0xff, v1
	v_sub_nc_u16 v59, v40, v2
	v_lshrrev_b16 v61, 13, v29
	v_lshlrev_b16 v1, 1, v57
	v_sub_nc_u16 v60, v41, v0
	v_lshlrev_b32_e32 v2, 4, v58
	v_lshlrev_b16 v0, 1, v59
	v_mul_u32_u24_e32 v62, 0xa0a1, v28
	v_mul_lo_u16 v65, v61, 51
	global_load_b128 v[12:15], v2, s[0:1]
	v_and_b32_e32 v1, 0xffff, v1
	v_and_b32_e32 v0, 0xffff, v0
	v_lshrrev_b32_e32 v62, 21, v62
	v_sub_nc_u16 v65, v98, v65
	s_delay_alu instid0(VALU_DEP_4) | instskip(NEXT) | instid1(VALU_DEP_3)
	v_lshlrev_b32_e32 v1, 3, v1
	v_mul_lo_u16 v66, v62, 51
	global_load_b128 v[16:19], v1, s[0:1]
	v_lshlrev_b16 v2, 1, v60
	v_lshlrev_b32_e32 v0, 3, v0
	v_and_b32_e32 v25, 0xffff, v98
	v_sub_nc_u16 v66, v52, v66
	v_mad_u16 v52, v54, 51, v57
	v_and_b32_e32 v2, 0xffff, v2
	v_mad_u16 v54, v56, 51, v60
	v_lshlrev_b32_e32 v99, 3, v25
	v_lshlrev_b16 v56, 4, v66
	s_delay_alu instid0(VALU_DEP_4)
	v_lshlrev_b32_e32 v1, 3, v2
	s_clause 0x1
	global_load_b128 v[8:11], v0, s[0:1]
	global_load_b128 v[0:3], v1, s[0:1]
	v_add_nc_u32_e32 v115, 0x1000, v99
	v_add_nc_u32_e32 v113, 0x2400, v99
	;; [unrolled: 1-line block ×4, first 2 shown]
	ds_load_2addr_b64 v[24:27], v99 offset1:153
	v_add_nc_u32_e32 v114, 0x2e00, v99
	ds_load_2addr_b64 v[28:31], v115 offset0:100 offset1:253
	ds_load_2addr_b64 v[32:35], v113 offset0:72 offset1:225
	;; [unrolled: 1-line block ×5, first 2 shown]
	v_and_b32_e32 v53, 0xffff, v53
	v_and_b32_e32 v65, 0xff, v65
	s_waitcnt vmcnt(0) lgkmcnt(0)
	s_barrier
	buffer_gl0_inv
	v_mul_f32_e32 v60, v32, v15
	v_mul_u32_u24_e32 v64, 0xa0a1, v43
	v_mul_u32_u24_e32 v43, 0x358b, v43
	s_delay_alu instid0(VALU_DEP_3) | instskip(NEXT) | instid1(VALU_DEP_3)
	v_fmac_f32_e32 v60, v33, v14
	v_lshrrev_b32_e32 v64, 21, v64
	s_delay_alu instid0(VALU_DEP_3) | instskip(NEXT) | instid1(VALU_DEP_2)
	v_lshrrev_b32_e32 v43, 21, v43
	v_mul_lo_u16 v68, v64, 51
	s_delay_alu instid0(VALU_DEP_2)
	v_mul_lo_u16 v43, 0x99, v43
	v_mul_f32_e32 v72, v48, v11
	v_mul_f32_e32 v76, v50, v3
	v_mul_u32_u24_e32 v53, 51, v53
	v_mul_f32_e32 v69, v45, v9
	v_mul_u32_u24_e32 v63, 0xa0a1, v42
	v_dual_mul_f32 v71, v49, v11 :: v_dual_mul_f32 v74, v46, v1
	s_delay_alu instid0(VALU_DEP_4)
	v_add_lshl_u32 v103, v53, v58, 3
	v_mad_u16 v53, v55, 51, v59
	v_mul_f32_e32 v59, v33, v15
	v_mul_f32_e32 v33, v30, v17
	v_lshrrev_b32_e32 v63, 21, v63
	v_and_b32_e32 v54, 0xffff, v54
	v_mul_f32_e32 v70, v44, v9
	v_mul_f32_e32 v73, v47, v1
	v_fmac_f32_e32 v33, v31, v16
	v_and_b32_e32 v52, 0xffff, v52
	v_and_b32_e32 v56, 0xffff, v56
	v_mul_lo_u16 v67, v63, 51
	v_dual_fmac_f32 v74, v47, v0 :: v_dual_lshlrev_b32 v101, 3, v54
	s_delay_alu instid0(VALU_DEP_4) | instskip(NEXT) | instid1(VALU_DEP_4)
	v_lshlrev_b32_e32 v105, 3, v52
	v_add_co_u32 v52, s2, s0, v56
	v_mul_f32_e32 v54, v29, v13
	v_mul_f32_e32 v56, v28, v13
	v_sub_nc_u16 v67, v40, v67
	v_sub_nc_u16 v68, v41, v68
	v_mul_f32_e32 v75, v51, v3
	v_fma_f32 v28, v28, v12, -v54
	v_fmac_f32_e32 v56, v29, v12
	v_fma_f32 v29, v32, v14, -v59
	v_mul_f32_e32 v59, v34, v19
	v_lshlrev_b32_e32 v55, 4, v65
	v_lshlrev_b16 v57, 4, v67
	v_mul_f32_e32 v32, v31, v17
	v_mul_f32_e32 v54, v35, v19
	v_add_f32_e32 v78, v28, v29
	v_sub_f32_e32 v79, v56, v60
	v_add_f32_e32 v83, v25, v56
	v_dual_add_f32 v56, v56, v60 :: v_dual_fmac_f32 v59, v35, v18
	v_lshlrev_b16 v58, 4, v68
	v_dual_fmac_f32 v70, v45, v8 :: v_dual_and_b32 v53, 0xffff, v53
	v_dual_fmac_f32 v72, v49, v10 :: v_dual_and_b32 v57, 0xffff, v57
	v_add_f32_e32 v77, v24, v28
	v_sub_f32_e32 v84, v28, v29
	v_fma_f32 v32, v30, v16, -v32
	v_fma_f32 v34, v34, v18, -v54
	;; [unrolled: 1-line block ×3, first 2 shown]
	v_fma_f32 v24, -0.5, v78, v24
	v_fma_f32 v25, -0.5, v56, v25
	v_dual_fmac_f32 v76, v51, v2 :: v_dual_add_f32 v51, v33, v59
	v_fma_f32 v44, v48, v10, -v71
	v_fma_f32 v45, v46, v0, -v73
	;; [unrolled: 1-line block ×3, first 2 shown]
	v_and_b32_e32 v58, 0xffff, v58
	v_dual_fmamk_f32 v31, v84, 0xbf5db3d7, v25 :: v_dual_lshlrev_b32 v102, 3, v53
	v_dual_add_f32 v28, v77, v29 :: v_dual_add_f32 v47, v26, v32
	v_add_f32_e32 v29, v83, v60
	v_dual_fmamk_f32 v30, v79, 0x3f5db3d7, v24 :: v_dual_sub_f32 v69, v70, v72
	v_dual_fmac_f32 v24, 0xbf5db3d7, v79 :: v_dual_add_f32 v71, v37, v70
	v_dual_add_f32 v48, v32, v34 :: v_dual_sub_f32 v73, v35, v44
	v_dual_add_f32 v50, v27, v33 :: v_dual_add_f32 v77, v45, v46
	v_dual_sub_f32 v54, v32, v34 :: v_dual_add_f32 v75, v38, v45
	v_dual_add_f32 v56, v36, v35 :: v_dual_add_f32 v79, v39, v74
	v_dual_add_f32 v70, v70, v72 :: v_dual_fmac_f32 v27, -0.5, v51
	v_fmac_f32_e32 v25, 0x3f5db3d7, v84
	v_dual_add_f32 v60, v35, v44 :: v_dual_sub_f32 v83, v45, v46
	v_sub_f32_e32 v78, v74, v76
	v_dual_add_f32 v74, v74, v76 :: v_dual_sub_f32 v49, v33, v59
	v_dual_add_f32 v32, v47, v34 :: v_dual_add_f32 v33, v50, v59
	v_fma_f32 v26, -0.5, v48, v26
	v_add_f32_e32 v34, v56, v44
	ds_store_2addr_b64 v103, v[28:29], v[30:31] offset1:17
	ds_store_b64 v103, v[24:25] offset:272
	v_fmamk_f32 v25, v54, 0xbf5db3d7, v27
	v_fmac_f32_e32 v27, 0x3f5db3d7, v54
	v_mad_u16 v54, 0x99, v64, v68
	v_fma_f32 v36, -0.5, v60, v36
	v_fma_f32 v37, -0.5, v70, v37
	;; [unrolled: 1-line block ×3, first 2 shown]
	v_fmac_f32_e32 v39, -0.5, v74
	v_dual_add_f32 v35, v71, v72 :: v_dual_fmamk_f32 v24, v49, 0x3f5db3d7, v26
	v_and_b32_e32 v59, 0xffff, v54
	v_dual_add_f32 v45, v79, v76 :: v_dual_fmac_f32 v26, 0xbf5db3d7, v49
	v_dual_add_f32 v44, v75, v46 :: v_dual_fmamk_f32 v29, v73, 0xbf5db3d7, v37
	v_dual_fmamk_f32 v28, v69, 0x3f5db3d7, v36 :: v_dual_fmac_f32 v37, 0x3f5db3d7, v73
	v_dual_fmac_f32 v36, 0xbf5db3d7, v69 :: v_dual_fmamk_f32 v31, v83, 0xbf5db3d7, v39
	v_dual_fmamk_f32 v30, v78, 0x3f5db3d7, v38 :: v_dual_fmac_f32 v39, 0x3f5db3d7, v83
	v_dual_fmac_f32 v38, 0xbf5db3d7, v78 :: v_dual_lshlrev_b32 v109, 3, v59
	ds_store_2addr_b64 v105, v[32:33], v[24:25] offset1:17
	ds_store_b64 v105, v[26:27] offset:272
	ds_store_2addr_b64 v102, v[34:35], v[28:29] offset1:17
	ds_store_b64 v102, v[36:37] offset:272
	ds_store_2addr_b64 v101, v[44:45], v[30:31] offset1:17
	ds_store_b64 v101, v[38:39] offset:272
	s_waitcnt lgkmcnt(0)
	s_barrier
	buffer_gl0_inv
	global_load_b128 v[36:39], v55, s[0:1] offset:272
	v_add_co_ci_u32_e64 v53, null, s1, 0, s2
	v_add_co_u32 v24, s2, s0, v57
	s_delay_alu instid0(VALU_DEP_1) | instskip(SKIP_2) | instid1(VALU_DEP_1)
	v_add_co_ci_u32_e64 v25, null, s1, 0, s2
	global_load_b128 v[32:35], v[52:53], off offset:272
	v_add_co_u32 v26, s2, s0, v58
	v_add_co_ci_u32_e64 v27, null, s1, 0, s2
	s_clause 0x1
	global_load_b128 v[28:31], v[24:25], off offset:272
	global_load_b128 v[24:27], v[26:27], off offset:272
	v_mul_u32_u24_e32 v42, 0x358b, v42
	v_sub_nc_u16 v50, v41, v43
	v_mad_u16 v53, 0x99, v63, v67
	s_delay_alu instid0(VALU_DEP_3) | instskip(NEXT) | instid1(VALU_DEP_3)
	v_lshrrev_b32_e32 v42, 21, v42
	v_and_b32_e32 v64, 0xffff, v50
	s_delay_alu instid0(VALU_DEP_3) | instskip(NEXT) | instid1(VALU_DEP_3)
	v_and_b32_e32 v58, 0xffff, v53
	v_mul_lo_u16 v42, 0x99, v42
	s_delay_alu instid0(VALU_DEP_1)
	v_sub_nc_u16 v49, v40, v42
	ds_load_2addr_b64 v[40:43], v115 offset0:100 offset1:253
	v_add_nc_u32_e32 v44, 0x264, v98
	v_add_nc_u32_e32 v45, 0x2fd, v98
	s_waitcnt vmcnt(3) lgkmcnt(0)
	v_dual_mul_f32 v67, v41, v37 :: v_dual_lshlrev_b32 v100, 3, v98
	s_delay_alu instid0(VALU_DEP_3) | instskip(SKIP_2) | instid1(VALU_DEP_4)
	v_and_b32_e32 v46, 0xffff, v44
	v_mul_f32_e32 v68, v40, v37
	v_and_b32_e32 v47, 0xffff, v45
	v_fma_f32 v40, v40, v36, -v67
	s_delay_alu instid0(VALU_DEP_4)
	v_mul_u32_u24_e32 v46, 0x358b, v46
	s_waitcnt vmcnt(2)
	v_mul_f32_e32 v71, v43, v33
	v_mul_u32_u24_e32 v47, 0x358b, v47
	v_mul_f32_e32 v72, v42, v33
	v_lshrrev_b32_e32 v46, 21, v46
	s_delay_alu instid0(VALU_DEP_4) | instskip(NEXT) | instid1(VALU_DEP_4)
	v_fma_f32 v42, v42, v32, -v71
	v_lshrrev_b32_e32 v47, 21, v47
	s_delay_alu instid0(VALU_DEP_3) | instskip(NEXT) | instid1(VALU_DEP_2)
	v_mul_lo_u16 v46, 0x99, v46
	v_mul_lo_u16 v47, 0x99, v47
	s_delay_alu instid0(VALU_DEP_2) | instskip(NEXT) | instid1(VALU_DEP_2)
	v_sub_nc_u16 v51, v44, v46
	v_sub_nc_u16 v52, v45, v47
	ds_load_2addr_b64 v[44:47], v113 offset0:72 offset1:225
	s_waitcnt lgkmcnt(0)
	v_dual_mul_f32 v73, v47, v35 :: v_dual_and_b32 v48, 0xffff, v61
	s_delay_alu instid0(VALU_DEP_1) | instskip(SKIP_3) | instid1(VALU_DEP_4)
	v_mul_u32_u24_e32 v48, 0x99, v48
	v_mul_f32_e32 v74, v46, v35
	v_mul_f32_e32 v69, v45, v39
	;; [unrolled: 1-line block ×3, first 2 shown]
	v_add_lshl_u32 v110, v48, v65, 3
	v_mad_u16 v48, 0x99, v62, v66
	v_and_b32_e32 v65, 0xffff, v51
	v_and_b32_e32 v66, 0xffff, v52
	ds_load_2addr_b64 v[52:55], v114 offset0:58 offset1:211
	v_and_b32_e32 v56, 0xffff, v49
	v_and_b32_e32 v57, 0xffff, v48
	ds_load_2addr_b64 v[48:51], v117 offset0:22 offset1:175
	s_waitcnt vmcnt(1) lgkmcnt(1)
	v_dual_mul_f32 v77, v53, v31 :: v_dual_lshlrev_b32 v104, 3, v56
	s_waitcnt vmcnt(0)
	v_mul_f32_e32 v85, v54, v27
	s_waitcnt lgkmcnt(0)
	v_mul_f32_e32 v83, v50, v25
	v_lshlrev_b32_e32 v112, 3, v57
	v_dual_mul_f32 v78, v52, v31 :: v_dual_lshlrev_b32 v111, 3, v58
	ds_load_2addr_b64 v[56:59], v99 offset1:153
	ds_load_2addr_b64 v[60:63], v116 offset0:50 offset1:203
	v_dual_fmac_f32 v68, v41, v36 :: v_dual_fmac_f32 v85, v55, v26
	v_fma_f32 v41, v44, v38, -v69
	v_fma_f32 v44, v46, v34, -v73
	v_mul_f32_e32 v75, v49, v29
	v_mul_f32_e32 v76, v48, v29
	;; [unrolled: 1-line block ×4, first 2 shown]
	v_dual_fmac_f32 v70, v45, v38 :: v_dual_add_f32 v55, v42, v44
	v_fmac_f32_e32 v72, v43, v32
	v_fmac_f32_e32 v74, v47, v34
	v_fma_f32 v43, v48, v28, -v75
	v_fmac_f32_e32 v76, v49, v28
	v_fma_f32 v46, v52, v30, -v77
	v_dual_fmac_f32 v78, v53, v30 :: v_dual_sub_f32 v71, v42, v44
	v_fma_f32 v45, v50, v24, -v79
	v_fmac_f32_e32 v83, v51, v24
	s_waitcnt lgkmcnt(1)
	v_add_f32_e32 v47, v56, v40
	v_fma_f32 v50, v54, v26, -v84
	v_dual_add_f32 v48, v40, v41 :: v_dual_add_f32 v73, v43, v46
	v_add_f32_e32 v51, v68, v70
	v_sub_f32_e32 v53, v68, v70
	v_add_f32_e32 v49, v57, v68
	s_waitcnt lgkmcnt(0)
	v_dual_add_f32 v69, v72, v74 :: v_dual_add_f32 v84, v62, v45
	v_dual_sub_f32 v54, v40, v41 :: v_dual_add_f32 v77, v61, v76
	v_dual_sub_f32 v75, v76, v78 :: v_dual_add_f32 v88, v63, v83
	v_add_f32_e32 v76, v76, v78
	v_dual_add_f32 v52, v58, v42 :: v_dual_sub_f32 v87, v83, v85
	v_dual_sub_f32 v67, v72, v74 :: v_dual_add_f32 v68, v59, v72
	v_dual_add_f32 v72, v60, v43 :: v_dual_sub_f32 v79, v43, v46
	v_dual_add_f32 v86, v45, v50 :: v_dual_fmac_f32 v59, -0.5, v69
	v_add_f32_e32 v83, v83, v85
	v_fma_f32 v42, -0.5, v48, v56
	v_fma_f32 v43, -0.5, v51, v57
	;; [unrolled: 1-line block ×3, first 2 shown]
	v_dual_sub_f32 v89, v45, v50 :: v_dual_add_f32 v40, v47, v41
	v_dual_add_f32 v41, v49, v70 :: v_dual_add_f32 v44, v52, v44
	v_fma_f32 v48, -0.5, v73, v60
	v_fma_f32 v49, -0.5, v76, v61
	v_dual_add_f32 v45, v68, v74 :: v_dual_fmamk_f32 v52, v53, 0x3f5db3d7, v42
	v_dual_add_f32 v46, v72, v46 :: v_dual_fmac_f32 v63, -0.5, v83
	v_dual_add_f32 v47, v77, v78 :: v_dual_fmac_f32 v42, 0xbf5db3d7, v53
	v_dual_add_f32 v50, v84, v50 :: v_dual_fmamk_f32 v53, v54, 0xbf5db3d7, v43
	v_fma_f32 v62, -0.5, v86, v62
	v_dual_fmac_f32 v43, 0x3f5db3d7, v54 :: v_dual_fmamk_f32 v56, v75, 0x3f5db3d7, v48
	v_dual_add_f32 v51, v88, v85 :: v_dual_fmamk_f32 v54, v67, 0x3f5db3d7, v58
	v_dual_fmac_f32 v58, 0xbf5db3d7, v67 :: v_dual_fmamk_f32 v55, v71, 0xbf5db3d7, v59
	s_delay_alu instid0(VALU_DEP_4)
	v_dual_fmac_f32 v59, 0x3f5db3d7, v71 :: v_dual_fmamk_f32 v60, v87, 0x3f5db3d7, v62
	v_dual_fmac_f32 v48, 0xbf5db3d7, v75 :: v_dual_fmamk_f32 v57, v79, 0xbf5db3d7, v49
	s_barrier
	buffer_gl0_inv
	v_dual_fmac_f32 v49, 0x3f5db3d7, v79 :: v_dual_lshlrev_b32 v108, 3, v64
	v_dual_fmac_f32 v62, 0xbf5db3d7, v87 :: v_dual_fmamk_f32 v61, v89, 0xbf5db3d7, v63
	v_dual_fmac_f32 v63, 0x3f5db3d7, v89 :: v_dual_lshlrev_b32 v106, 3, v66
	ds_store_2addr_b64 v110, v[40:41], v[52:53] offset1:51
	ds_store_b64 v110, v[42:43] offset:816
	ds_store_2addr_b64 v112, v[44:45], v[54:55] offset1:51
	ds_store_b64 v112, v[58:59] offset:816
	ds_store_2addr_b64 v111, v[46:47], v[56:57] offset1:51
	ds_store_b64 v111, v[48:49] offset:816
	ds_store_2addr_b64 v109, v[50:51], v[60:61] offset1:51
	ds_store_b64 v109, v[62:63] offset:816
	s_waitcnt lgkmcnt(0)
	s_barrier
	buffer_gl0_inv
	s_clause 0x1
	global_load_b64 v[91:92], v100, s[0:1] offset:1088
	global_load_b64 v[87:88], v104, s[0:1] offset:1088
	v_lshlrev_b32_e32 v107, 3, v65
	s_clause 0x2
	global_load_b64 v[89:90], v108, s[0:1] offset:1088
	global_load_b64 v[85:86], v107, s[0:1] offset:1088
	;; [unrolled: 1-line block ×3, first 2 shown]
	ds_load_2addr_b64 v[40:43], v117 offset0:22 offset1:175
	ds_load_2addr_b64 v[44:47], v113 offset0:72 offset1:225
	;; [unrolled: 1-line block ×3, first 2 shown]
	ds_load_2addr_b64 v[52:55], v99 offset1:153
	ds_load_2addr_b64 v[56:59], v116 offset0:50 offset1:203
	ds_load_2addr_b64 v[60:63], v115 offset0:100 offset1:253
	v_add_nc_u32_e32 v69, 0x2e00, v106
	v_add_nc_u32_e32 v66, 0x1000, v104
	;; [unrolled: 1-line block ×3, first 2 shown]
	v_mad_u64_u32 v[64:65], null, v98, 40, s[0:1]
	s_waitcnt vmcnt(0) lgkmcnt(0)
	s_barrier
	buffer_gl0_inv
	v_mul_f32_e32 v70, v41, v92
	v_dual_mul_f32 v71, v40, v92 :: v_dual_add_nc_u32 v68, 0x2400, v107
	v_mul_f32_e32 v72, v43, v92
	v_dual_mul_f32 v73, v42, v92 :: v_dual_mul_f32 v78, v49, v86
	v_dual_mul_f32 v74, v45, v88 :: v_dual_mul_f32 v79, v48, v86
	s_delay_alu instid0(VALU_DEP_4) | instskip(SKIP_1) | instid1(VALU_DEP_2)
	v_dual_mul_f32 v94, v50, v84 :: v_dual_fmac_f32 v71, v41, v91
	v_dual_mul_f32 v75, v44, v88 :: v_dual_mul_f32 v76, v47, v90
	v_dual_mul_f32 v77, v46, v90 :: v_dual_fmac_f32 v94, v51, v83
	v_fma_f32 v40, v40, v91, -v70
	v_fma_f32 v42, v42, v91, -v72
	v_mul_f32_e32 v93, v51, v84
	v_fmac_f32_e32 v73, v43, v91
	v_fma_f32 v44, v44, v87, -v74
	v_dual_sub_f32 v40, v52, v40 :: v_dual_fmac_f32 v75, v45, v87
	v_fma_f32 v46, v46, v89, -v76
	v_fmac_f32_e32 v77, v47, v89
	v_fma_f32 v48, v48, v85, -v78
	v_dual_fmac_f32 v79, v49, v85 :: v_dual_sub_f32 v42, v54, v42
	v_fma_f32 v50, v50, v83, -v93
	v_sub_f32_e32 v41, v53, v71
	v_dual_sub_f32 v43, v55, v73 :: v_dual_sub_f32 v44, v56, v44
	v_dual_sub_f32 v45, v57, v75 :: v_dual_sub_f32 v46, v58, v46
	;; [unrolled: 1-line block ×4, first 2 shown]
	v_sub_f32_e32 v51, v63, v94
	v_fma_f32 v52, v52, 2.0, -v40
	v_fma_f32 v53, v53, 2.0, -v41
	;; [unrolled: 1-line block ×12, first 2 shown]
	ds_store_2addr_b64 v99, v[52:53], v[40:41] offset1:153
	ds_store_2addr_b64 v116, v[54:55], v[42:43] offset0:50 offset1:203
	ds_store_2addr_b64 v66, v[56:57], v[44:45] offset0:100 offset1:253
	;; [unrolled: 1-line block ×5, first 2 shown]
	v_add_co_u32 v44, s0, 0x2000, v64
	s_waitcnt lgkmcnt(0)
	s_barrier
	buffer_gl0_inv
	s_clause 0x1
	global_load_b128 v[40:43], v[64:65], off offset:2328
	global_load_b128 v[48:51], v[64:65], off offset:2312
	v_add_co_ci_u32_e64 v45, s0, 0, v65, s0
	v_add_co_u32 v56, s0, 0x20f0, v64
	s_delay_alu instid0(VALU_DEP_1)
	v_add_co_ci_u32_e64 v57, s0, 0, v65, s0
	s_clause 0x3
	global_load_b64 v[95:96], v[64:65], off offset:2344
	global_load_b128 v[52:55], v[44:45], off offset:240
	global_load_b128 v[44:47], v[56:57], off offset:16
	global_load_b64 v[93:94], v[56:57], off offset:32
	ds_load_2addr_b64 v[56:59], v116 offset0:50 offset1:203
	ds_load_2addr_b64 v[60:63], v115 offset0:100 offset1:253
	;; [unrolled: 1-line block ×5, first 2 shown]
	ds_load_2addr_b64 v[76:79], v99 offset1:153
	s_waitcnt vmcnt(5) lgkmcnt(2)
	v_mul_f32_e32 v124, v69, v43
	s_waitcnt vmcnt(4)
	v_mul_f32_e32 v118, v57, v49
	v_dual_mul_f32 v120, v61, v51 :: v_dual_mul_f32 v119, v56, v49
	v_dual_mul_f32 v121, v60, v51 :: v_dual_mul_f32 v122, v65, v41
	v_mul_f32_e32 v123, v64, v41
	s_delay_alu instid0(VALU_DEP_4)
	v_fma_f32 v118, v56, v48, -v118
	s_waitcnt vmcnt(2) lgkmcnt(1)
	v_dual_mul_f32 v130, v63, v55 :: v_dual_mul_f32 v127, v72, v96
	s_waitcnt vmcnt(1)
	v_mul_f32_e32 v134, v71, v47
	v_mul_f32_e32 v128, v59, v53
	v_fma_f32 v56, v60, v50, -v120
	v_fma_f32 v60, v68, v42, -v124
	v_mul_f32_e32 v129, v58, v53
	s_waitcnt vmcnt(0)
	v_dual_mul_f32 v125, v68, v43 :: v_dual_mul_f32 v136, v75, v94
	v_mul_f32_e32 v132, v67, v45
	v_fma_f32 v58, v58, v52, -v128
	v_fmac_f32_e32 v127, v73, v95
	v_fmac_f32_e32 v129, v59, v52
	v_fma_f32 v59, v62, v54, -v130
	v_fmac_f32_e32 v123, v65, v40
	v_dual_mul_f32 v126, v73, v96 :: v_dual_mul_f32 v137, v74, v94
	v_fmac_f32_e32 v119, v57, v48
	v_fmac_f32_e32 v121, v61, v50
	v_fma_f32 v57, v64, v40, -v122
	v_fma_f32 v64, v74, v93, -v136
	v_add_f32_e32 v74, v123, v127
	s_waitcnt lgkmcnt(0)
	v_dual_mul_f32 v131, v62, v55 :: v_dual_add_f32 v68, v77, v121
	v_fma_f32 v62, v66, v44, -v132
	v_mul_f32_e32 v133, v66, v45
	v_fma_f32 v61, v72, v95, -v126
	s_delay_alu instid0(VALU_DEP_4)
	v_fmac_f32_e32 v131, v63, v54
	v_fma_f32 v63, v70, v46, -v134
	v_dual_add_f32 v126, v62, v64 :: v_dual_fmac_f32 v125, v69, v42
	v_add_f32_e32 v65, v76, v56
	v_add_f32_e32 v66, v56, v60
	v_sub_f32_e32 v56, v56, v60
	v_add_f32_e32 v120, v59, v63
	v_add_f32_e32 v124, v58, v62
	v_dual_fmac_f32 v58, -0.5, v126 :: v_dual_fmac_f32 v133, v67, v44
	v_sub_f32_e32 v72, v123, v127
	v_dual_fmac_f32 v137, v75, v93 :: v_dual_sub_f32 v62, v62, v64
	v_mul_f32_e32 v135, v70, v47
	v_dual_add_f32 v70, v118, v57 :: v_dual_add_f32 v73, v119, v123
	v_add_f32_e32 v60, v65, v60
	v_dual_add_f32 v122, v79, v131 :: v_dual_add_f32 v65, v68, v125
	v_dual_sub_f32 v67, v121, v125 :: v_dual_add_f32 v64, v124, v64
	s_delay_alu instid0(VALU_DEP_4) | instskip(SKIP_3) | instid1(VALU_DEP_2)
	v_add_f32_e32 v68, v73, v127
	v_dual_sub_f32 v128, v133, v137 :: v_dual_fmac_f32 v135, v71, v46
	v_add_f32_e32 v71, v57, v61
	v_fma_f32 v76, -0.5, v66, v76
	v_dual_add_f32 v69, v121, v125 :: v_dual_fmac_f32 v118, -0.5, v71
	v_add_f32_e32 v130, v129, v133
	v_sub_f32_e32 v57, v57, v61
	v_sub_f32_e32 v121, v131, v135
	v_add_f32_e32 v61, v70, v61
	s_delay_alu instid0(VALU_DEP_4)
	v_dual_fmamk_f32 v71, v67, 0x3f5db3d7, v76 :: v_dual_add_f32 v70, v130, v137
	v_fmac_f32_e32 v119, -0.5, v74
	v_add_f32_e32 v75, v78, v59
	v_sub_f32_e32 v59, v59, v63
	v_fma_f32 v78, -0.5, v120, v78
	v_fmac_f32_e32 v76, 0xbf5db3d7, v67
	v_fma_f32 v77, -0.5, v69, v77
	v_add_f32_e32 v63, v75, v63
	v_add_f32_e32 v69, v122, v135
	v_fmamk_f32 v75, v72, 0x3f5db3d7, v118
	v_fmac_f32_e32 v118, 0xbf5db3d7, v72
	v_fmamk_f32 v122, v121, 0x3f5db3d7, v78
	v_fmac_f32_e32 v78, 0xbf5db3d7, v121
	v_fmamk_f32 v120, v57, 0xbf5db3d7, v119
	v_add_f32_e32 v72, v63, v64
	v_add_f32_e32 v123, v131, v135
	v_dual_add_f32 v131, v133, v137 :: v_dual_fmamk_f32 v74, v56, 0xbf5db3d7, v77
	v_fmac_f32_e32 v77, 0x3f5db3d7, v56
	v_fmac_f32_e32 v119, 0x3f5db3d7, v57
	s_delay_alu instid0(VALU_DEP_4) | instskip(SKIP_1) | instid1(VALU_DEP_2)
	v_dual_add_f32 v56, v60, v61 :: v_dual_fmac_f32 v79, -0.5, v123
	v_dual_sub_f32 v66, v60, v61 :: v_dual_mul_f32 v61, 0x3f5db3d7, v120
	v_dual_mul_f32 v124, -0.5, v119 :: v_dual_fmamk_f32 v121, v59, 0xbf5db3d7, v79
	s_delay_alu instid0(VALU_DEP_2) | instskip(SKIP_3) | instid1(VALU_DEP_2)
	v_fmac_f32_e32 v61, 0.5, v75
	v_fmac_f32_e32 v79, 0x3f5db3d7, v59
	v_fmamk_f32 v59, v128, 0x3f5db3d7, v58
	v_dual_fmac_f32 v58, 0xbf5db3d7, v128 :: v_dual_fmac_f32 v129, -0.5, v131
	v_dual_fmac_f32 v124, 0xbf5db3d7, v118 :: v_dual_mul_f32 v127, 0xbf5db3d7, v59
	s_delay_alu instid0(VALU_DEP_2) | instskip(NEXT) | instid1(VALU_DEP_3)
	v_mul_f32_e32 v126, -0.5, v58
	v_fmamk_f32 v60, v62, 0xbf5db3d7, v129
	v_fmac_f32_e32 v129, 0x3f5db3d7, v62
	v_add_f32_e32 v57, v65, v68
	v_dual_sub_f32 v62, v63, v64 :: v_dual_sub_f32 v63, v69, v70
	s_delay_alu instid0(VALU_DEP_3) | instskip(SKIP_1) | instid1(VALU_DEP_2)
	v_dual_mul_f32 v125, 0x3f5db3d7, v60 :: v_dual_fmac_f32 v126, 0x3f5db3d7, v129
	v_fmac_f32_e32 v127, 0.5, v60
	v_fmac_f32_e32 v125, 0.5, v59
	v_add_f32_e32 v73, v69, v70
	v_mul_f32_e32 v69, -0.5, v118
	v_add_f32_e32 v60, v78, v126
	s_delay_alu instid0(VALU_DEP_2) | instskip(NEXT) | instid1(VALU_DEP_1)
	v_dual_sub_f32 v78, v78, v126 :: v_dual_fmac_f32 v69, 0x3f5db3d7, v119
	v_sub_f32_e32 v70, v76, v69
	v_dual_mul_f32 v128, -0.5, v129 :: v_dual_sub_f32 v67, v65, v68
	v_dual_add_f32 v64, v76, v69 :: v_dual_add_f32 v65, v77, v124
	v_sub_f32_e32 v68, v71, v61
	s_delay_alu instid0(VALU_DEP_3) | instskip(SKIP_3) | instid1(VALU_DEP_4)
	v_fmac_f32_e32 v128, 0xbf5db3d7, v58
	v_dual_add_f32 v58, v71, v61 :: v_dual_mul_f32 v123, 0xbf5db3d7, v75
	v_sub_f32_e32 v71, v77, v124
	v_add_f32_e32 v75, v121, v127
	v_dual_add_f32 v61, v79, v128 :: v_dual_sub_f32 v76, v122, v125
	s_delay_alu instid0(VALU_DEP_4)
	v_fmac_f32_e32 v123, 0.5, v120
	v_sub_f32_e32 v77, v121, v127
	v_sub_f32_e32 v79, v79, v128
	ds_store_2addr_b64 v99, v[56:57], v[72:73] offset1:153
	v_add_f32_e32 v59, v74, v123
	v_sub_f32_e32 v69, v74, v123
	v_add_f32_e32 v74, v122, v125
	ds_store_2addr_b64 v117, v[66:67], v[62:63] offset0:22 offset1:175
	ds_store_2addr_b64 v116, v[58:59], v[74:75] offset0:50 offset1:203
	;; [unrolled: 1-line block ×5, first 2 shown]
	s_waitcnt lgkmcnt(0)
	s_barrier
	buffer_gl0_inv
	s_and_saveexec_b32 s1, vcc_lo
	s_cbranch_execz .LBB0_9
; %bb.8:
	v_add_co_u32 v121, s0, s12, v97
	s_delay_alu instid0(VALU_DEP_1) | instskip(SKIP_1) | instid1(VALU_DEP_3)
	v_add_co_ci_u32_e64 v122, null, s13, 0, s0
	v_add_nc_u32_e32 v178, 0x800, v100
	v_add_co_u32 v113, s0, 0x3000, v121
	s_delay_alu instid0(VALU_DEP_1) | instskip(SKIP_1) | instid1(VALU_DEP_1)
	v_add_co_ci_u32_e64 v114, s0, 0, v122, s0
	v_add_co_u32 v115, s0, 0x3960, v121
	v_add_co_ci_u32_e64 v116, s0, 0, v122, s0
	s_clause 0x3
	global_load_b64 v[113:114], v[113:114], off offset:2400
	global_load_b64 v[145:146], v[115:116], off offset:864
	;; [unrolled: 1-line block ×4, first 2 shown]
	v_add_co_u32 v117, s0, 0x4000, v121
	s_delay_alu instid0(VALU_DEP_1) | instskip(SKIP_1) | instid1(VALU_DEP_1)
	v_add_co_ci_u32_e64 v118, s0, 0, v122, s0
	v_add_co_u32 v119, s0, 0x5000, v121
	v_add_co_ci_u32_e64 v120, s0, 0, v122, s0
	s_clause 0x5
	global_load_b64 v[151:152], v[115:116], off offset:3456
	global_load_b64 v[153:154], v[117:118], off offset:2624
	;; [unrolled: 1-line block ×6, first 2 shown]
	v_add_co_u32 v115, s0, 0x6000, v121
	s_delay_alu instid0(VALU_DEP_1)
	v_add_co_ci_u32_e64 v116, s0, 0, v122, s0
	s_clause 0x6
	global_load_b64 v[163:164], v[119:120], off offset:2848
	global_load_b64 v[165:166], v[119:120], off offset:3712
	;; [unrolled: 1-line block ×7, first 2 shown]
	ds_load_b64 v[115:116], v99
	v_add_nc_u32_e32 v179, 0x1000, v100
	v_add_nc_u32_e32 v181, 0x1c00, v100
	s_waitcnt vmcnt(16) lgkmcnt(0)
	v_mul_f32_e32 v117, v116, v114
	v_mul_f32_e32 v118, v115, v114
	s_delay_alu instid0(VALU_DEP_2) | instskip(NEXT) | instid1(VALU_DEP_2)
	v_fma_f32 v117, v115, v113, -v117
	v_fmac_f32_e32 v118, v116, v113
	ds_store_b64 v99, v[117:118]
	ds_load_2addr_b64 v[113:116], v100 offset0:108 offset1:216
	ds_load_2addr_b64 v[117:120], v178 offset0:68 offset1:176
	v_add_nc_u32_e32 v180, 0x1400, v100
	v_add_nc_u32_e32 v182, 0x2400, v100
	ds_load_2addr_b64 v[121:124], v179 offset0:28 offset1:136
	v_add_nc_u32_e32 v183, 0x2800, v100
	s_waitcnt vmcnt(15) lgkmcnt(2)
	v_dual_mul_f32 v185, v114, v146 :: v_dual_add_nc_u32 v184, 0x3000, v100
	s_waitcnt vmcnt(13) lgkmcnt(1)
	v_mul_f32_e32 v187, v118, v150
	ds_load_2addr_b64 v[125:128], v180 offset0:116 offset1:224
	v_dual_mul_f32 v177, v113, v146 :: v_dual_mul_f32 v186, v116, v148
	s_waitcnt vmcnt(11) lgkmcnt(1)
	v_dual_mul_f32 v189, v122, v154 :: v_dual_mul_f32 v146, v115, v148
	v_mul_f32_e32 v148, v117, v150
	ds_load_2addr_b64 v[129:132], v181 offset0:76 offset1:184
	ds_load_2addr_b64 v[133:136], v182 offset0:36 offset1:144
	;; [unrolled: 1-line block ×4, first 2 shown]
	v_mul_f32_e32 v188, v120, v152
	v_mul_f32_e32 v150, v119, v152
	v_dual_mul_f32 v152, v121, v154 :: v_dual_fmac_f32 v177, v114, v145
	s_waitcnt vmcnt(10)
	v_mul_f32_e32 v190, v124, v156
	v_mul_f32_e32 v154, v123, v156
	v_fmac_f32_e32 v148, v118, v149
	v_fmac_f32_e32 v152, v122, v153
	s_waitcnt vmcnt(9) lgkmcnt(4)
	v_mul_f32_e32 v191, v126, v158
	v_mul_f32_e32 v156, v125, v158
	s_waitcnt vmcnt(8)
	v_mul_f32_e32 v192, v128, v160
	s_waitcnt vmcnt(7) lgkmcnt(3)
	v_dual_mul_f32 v158, v127, v160 :: v_dual_mul_f32 v193, v130, v162
	v_mul_f32_e32 v160, v129, v162
	s_waitcnt vmcnt(1) lgkmcnt(0)
	v_dual_mul_f32 v199, v142, v174 :: v_dual_mul_f32 v194, v132, v164
	v_dual_mul_f32 v162, v131, v164 :: v_dual_mul_f32 v195, v134, v166
	v_mul_f32_e32 v164, v133, v166
	v_mul_f32_e32 v196, v136, v168
	v_dual_mul_f32 v166, v135, v168 :: v_dual_mul_f32 v197, v138, v170
	v_mul_f32_e32 v168, v137, v170
	v_mul_f32_e32 v198, v140, v172
	;; [unrolled: 1-line block ×4, first 2 shown]
	s_waitcnt vmcnt(0)
	v_mul_f32_e32 v200, v144, v176
	v_mul_f32_e32 v174, v143, v176
	v_fma_f32 v176, v113, v145, -v185
	v_fma_f32 v145, v115, v147, -v186
	v_fmac_f32_e32 v146, v116, v147
	v_fma_f32 v147, v117, v149, -v187
	v_fma_f32 v149, v119, v151, -v188
	v_fmac_f32_e32 v150, v120, v151
	;; [unrolled: 3-line block ×3, first 2 shown]
	v_fma_f32 v155, v125, v157, -v191
	v_fmac_f32_e32 v156, v126, v157
	v_fma_f32 v157, v127, v159, -v192
	v_fmac_f32_e32 v158, v128, v159
	;; [unrolled: 2-line block ×10, first 2 shown]
	ds_store_2addr_b64 v100, v[176:177], v[145:146] offset0:108 offset1:216
	ds_store_2addr_b64 v178, v[147:148], v[149:150] offset0:68 offset1:176
	;; [unrolled: 1-line block ×8, first 2 shown]
.LBB0_9:
	s_or_b32 exec_lo, exec_lo, s1
	s_waitcnt lgkmcnt(0)
	s_barrier
	buffer_gl0_inv
	s_and_saveexec_b32 s0, vcc_lo
	s_cbranch_execz .LBB0_11
; %bb.10:
	v_add_nc_u32_e32 v4, 0x400, v99
	v_add_nc_u32_e32 v5, 0xc00, v99
	;; [unrolled: 1-line block ×3, first 2 shown]
	ds_load_2addr_b64 v[56:59], v99 offset1:108
	v_add_nc_u32_e32 v7, 0x2800, v99
	ds_load_2addr_b64 v[64:67], v4 offset0:88 offset1:196
	ds_load_2addr_b64 v[68:71], v5 offset0:48 offset1:156
	v_add_nc_u32_e32 v4, 0x1800, v99
	v_add_nc_u32_e32 v5, 0x2000, v99
	v_add_nc_u32_e32 v81, 0x2c00, v99
	ds_load_2addr_b64 v[72:75], v6 offset0:136 offset1:244
	ds_load_2addr_b64 v[60:63], v4 offset0:96 offset1:204
	;; [unrolled: 1-line block ×5, first 2 shown]
	ds_load_b64 v[81:82], v99 offset:13824
.LBB0_11:
	s_or_b32 exec_lo, exec_lo, s0
	s_waitcnt lgkmcnt(0)
	s_barrier
	buffer_gl0_inv
	s_and_saveexec_b32 s0, vcc_lo
	s_cbranch_execz .LBB0_13
; %bb.12:
	v_dual_add_f32 v113, v59, v57 :: v_dual_add_f32 v114, v58, v56
	v_dual_add_f32 v116, v79, v73 :: v_dual_add_f32 v115, v77, v75
	v_sub_f32_e32 v118, v73, v79
	s_delay_alu instid0(VALU_DEP_3) | instskip(SKIP_1) | instid1(VALU_DEP_4)
	v_dual_add_f32 v113, v65, v113 :: v_dual_add_f32 v114, v64, v114
	v_sub_f32_e32 v117, v75, v77
	v_mul_f32_e32 v187, 0x3dbcf732, v116
	v_mul_f32_e32 v199, 0xbf59a7d5, v116
	s_delay_alu instid0(VALU_DEP_4) | instskip(SKIP_1) | instid1(VALU_DEP_2)
	v_dual_add_f32 v113, v67, v113 :: v_dual_add_f32 v114, v66, v114
	v_mul_f32_e32 v223, 0x3f3d2fb0, v116
	v_dual_add_f32 v113, v69, v113 :: v_dual_add_f32 v114, v68, v114
	s_delay_alu instid0(VALU_DEP_1) | instskip(NEXT) | instid1(VALU_DEP_1)
	v_dual_add_f32 v113, v71, v113 :: v_dual_add_f32 v114, v70, v114
	v_dual_add_f32 v113, v73, v113 :: v_dual_add_f32 v114, v72, v114
	v_add_f32_e32 v73, v78, v72
	v_mul_f32_e32 v167, 0xbeb8f4ab, v118
	s_delay_alu instid0(VALU_DEP_3) | instskip(NEXT) | instid1(VALU_DEP_4)
	v_dual_mul_f32 v192, 0x3f7ee86f, v118 :: v_dual_add_f32 v119, v75, v113
	v_add_f32_e32 v120, v74, v114
	v_dual_sub_f32 v114, v72, v78 :: v_dual_sub_f32 v113, v74, v76
	v_add_f32_e32 v72, v76, v74
	s_delay_alu instid0(VALU_DEP_3) | instskip(SKIP_3) | instid1(VALU_DEP_4)
	v_dual_add_f32 v74, v61, v119 :: v_dual_add_f32 v75, v60, v120
	v_mul_f32_e32 v168, 0xbf7ee86f, v117
	v_mul_f32_e32 v205, 0x3f4c4adb, v117
	;; [unrolled: 1-line block ×3, first 2 shown]
	v_dual_add_f32 v74, v63, v74 :: v_dual_add_f32 v75, v62, v75
	v_mul_f32_e32 v193, 0xbeb8f4ab, v117
	v_mul_f32_e32 v204, 0xbf06c442, v118
	s_delay_alu instid0(VALU_DEP_3) | instskip(SKIP_1) | instid1(VALU_DEP_2)
	v_dual_add_f32 v74, v77, v74 :: v_dual_add_f32 v75, v76, v75
	v_dual_add_f32 v77, v23, v69 :: v_dual_add_f32 v76, v21, v71
	;; [unrolled: 1-line block ×3, first 2 shown]
	v_dual_sub_f32 v75, v68, v22 :: v_dual_sub_f32 v74, v70, v20
	v_dual_sub_f32 v79, v69, v23 :: v_dual_sub_f32 v78, v71, v21
	v_dual_add_f32 v69, v22, v68 :: v_dual_add_f32 v68, v20, v70
	s_delay_alu instid0(VALU_DEP_4) | instskip(SKIP_2) | instid1(VALU_DEP_3)
	v_dual_add_f32 v21, v21, v119 :: v_dual_add_f32 v20, v20, v120
	v_dual_add_f32 v70, v7, v65 :: v_dual_add_f32 v71, v5, v67
	v_sub_f32_e32 v65, v65, v7
	v_dual_add_f32 v119, v23, v21 :: v_dual_add_f32 v120, v22, v20
	v_dual_sub_f32 v21, v64, v6 :: v_dual_sub_f32 v20, v66, v4
	v_dual_add_f32 v23, v6, v64 :: v_dual_add_f32 v22, v4, v66
	s_delay_alu instid0(VALU_DEP_3) | instskip(NEXT) | instid1(VALU_DEP_4)
	v_dual_sub_f32 v64, v67, v5 :: v_dual_add_f32 v5, v5, v119
	v_dual_add_f32 v4, v4, v120 :: v_dual_mul_f32 v165, 0x3f763a35, v79
	v_mul_f32_e32 v160, 0xbe8c1d8e, v77
	v_mul_f32_e32 v163, 0xbf4c4adb, v65
	s_delay_alu instid0(VALU_DEP_3)
	v_dual_add_f32 v67, v7, v5 :: v_dual_add_f32 v120, v6, v4
	v_add_f32_e32 v5, v82, v59
	v_sub_f32_e32 v4, v58, v81
	v_add_f32_e32 v58, v81, v58
	v_mul_f32_e32 v159, 0xbf1a4643, v70
	v_mul_f32_e32 v161, 0x3f3d2fb0, v76
	;; [unrolled: 1-line block ×8, first 2 shown]
	v_fmamk_f32 v7, v5, 0xbf59a7d5, v6
	v_fma_f32 v6, 0xbf59a7d5, v5, -v6
	v_mul_f32_e32 v123, 0x3ee437d1, v5
	v_mul_f32_e32 v129, 0x3f3d2fb0, v5
	v_fmamk_f32 v124, v4, 0x3e3c28d5, v66
	s_delay_alu instid0(VALU_DEP_4)
	v_dual_fmac_f32 v66, 0xbe3c28d5, v4 :: v_dual_add_f32 v149, v57, v6
	v_mul_f32_e32 v5, 0x3f6eb680, v5
	v_fmamk_f32 v126, v4, 0x3f763a35, v121
	v_fmamk_f32 v125, v4, 0x3f4c4adb, v119
	v_fmac_f32_e32 v119, 0xbf4c4adb, v4
	v_fmac_f32_e32 v121, 0xbf763a35, v4
	v_fmamk_f32 v130, v4, 0x3f2c7751, v129
	v_dual_fmac_f32 v129, 0xbf2c7751, v4 :: v_dual_add_f32 v146, v57, v7
	v_fmamk_f32 v128, v4, 0x3f65296c, v123
	v_fmamk_f32 v127, v4, 0x3f7ee86f, v122
	v_fmac_f32_e32 v122, 0xbf7ee86f, v4
	v_dual_add_f32 v148, v57, v124 :: v_dual_fmamk_f32 v131, v4, 0x3eb8f4ab, v5
	v_fmac_f32_e32 v123, 0xbf65296c, v4
	v_dual_fmac_f32 v5, 0xbeb8f4ab, v4 :: v_dual_sub_f32 v4, v59, v82
	v_add_f32_e32 v152, v57, v126
	v_add_f32_e32 v154, v57, v128
	;; [unrolled: 1-line block ×3, first 2 shown]
	s_delay_alu instid0(VALU_DEP_4)
	v_dual_add_f32 v151, v57, v125 :: v_dual_mul_f32 v138, 0xbf2c7751, v4
	v_mul_f32_e32 v137, 0xbf65296c, v4
	v_mul_f32_e32 v133, 0xbe3c28d5, v4
	;; [unrolled: 1-line block ×4, first 2 shown]
	v_fmamk_f32 v144, v58, 0x3f3d2fb0, v138
	v_fma_f32 v138, 0x3f3d2fb0, v58, -v138
	v_mul_f32_e32 v135, 0xbf763a35, v4
	v_fmamk_f32 v143, v58, 0x3ee437d1, v137
	v_mul_f32_e32 v134, 0xbf4c4adb, v4
	v_dual_add_f32 v144, v56, v144 :: v_dual_fmamk_f32 v139, v58, 0xbf7ba420, v133
	s_delay_alu instid0(VALU_DEP_4) | instskip(SKIP_1) | instid1(VALU_DEP_4)
	v_fmamk_f32 v141, v58, 0xbe8c1d8e, v135
	v_fma_f32 v135, 0xbe8c1d8e, v58, -v135
	v_dual_add_f32 v143, v56, v143 :: v_dual_fmamk_f32 v140, v58, 0xbf1a4643, v134
	v_fma_f32 v134, 0xbf1a4643, v58, -v134
	s_delay_alu instid0(VALU_DEP_4) | instskip(NEXT) | instid1(VALU_DEP_4)
	v_add_f32_e32 v141, v56, v141
	v_add_f32_e32 v127, v56, v135
	v_dual_mul_f32 v59, 0xbf06c442, v4 :: v_dual_add_f32 v126, v57, v122
	v_add_f32_e32 v140, v56, v140
	v_fmamk_f32 v142, v58, 0x3dbcf732, v136
	v_fma_f32 v136, 0x3dbcf732, v58, -v136
	s_delay_alu instid0(VALU_DEP_4)
	v_fma_f32 v132, 0xbf59a7d5, v58, -v59
	v_fmac_f32_e32 v59, 0xbf59a7d5, v58
	v_add_f32_e32 v158, v56, v134
	v_add_f32_e32 v6, v57, v5
	v_fma_f32 v137, 0x3ee437d1, v58, -v137
	v_fma_f32 v133, 0xbf7ba420, v58, -v133
	v_add_f32_e32 v150, v56, v59
	v_dual_mul_f32 v4, 0xbeb8f4ab, v4 :: v_dual_add_f32 v157, v57, v119
	v_add_f32_e32 v139, v56, v139
	v_add_f32_e32 v125, v56, v136
	s_delay_alu instid0(VALU_DEP_3) | instskip(SKIP_3) | instid1(VALU_DEP_4)
	v_dual_add_f32 v142, v56, v142 :: v_dual_fmamk_f32 v145, v58, 0x3f6eb680, v4
	v_fma_f32 v4, 0x3f6eb680, v58, -v4
	v_add_f32_e32 v128, v57, v121
	v_add_f32_e32 v58, v57, v131
	v_dual_add_f32 v124, v57, v123 :: v_dual_add_f32 v131, v56, v145
	v_add_f32_e32 v145, v57, v66
	v_add_f32_e32 v123, v56, v137
	v_dual_add_f32 v66, v56, v138 :: v_dual_add_f32 v137, v63, v61
	v_dual_sub_f32 v138, v61, v63 :: v_dual_mul_f32 v61, 0x3f3d2fb0, v70
	v_add_f32_e32 v147, v56, v132
	v_add_f32_e32 v156, v56, v133
	;; [unrolled: 1-line block ×3, first 2 shown]
	v_sub_f32_e32 v4, v60, v62
	v_dual_fmamk_f32 v56, v21, 0x3f2c7751, v61 :: v_dual_add_f32 v5, v62, v60
	v_dual_mul_f32 v60, 0x3ee437d1, v71 :: v_dual_add_f32 v155, v57, v130
	s_delay_alu instid0(VALU_DEP_2) | instskip(SKIP_1) | instid1(VALU_DEP_3)
	v_dual_add_f32 v119, v57, v129 :: v_dual_add_f32 v56, v56, v58
	v_mul_f32_e32 v58, 0xbe8c1d8e, v76
	v_fmamk_f32 v57, v20, 0x3f65296c, v60
	v_mul_f32_e32 v121, 0xbf65296c, v64
	v_mul_f32_e32 v122, 0xbf2c7751, v65
	v_dual_add_f32 v130, v82, v67 :: v_dual_mul_f32 v67, 0xbf4c4adb, v118
	s_delay_alu instid0(VALU_DEP_4)
	v_dual_add_f32 v56, v57, v56 :: v_dual_mul_f32 v59, 0x3dbcf732, v77
	v_mul_f32_e32 v166, 0x3f2c7751, v78
	v_mul_f32_e32 v172, 0xbf7ba420, v77
	v_mul_f32_e32 v169, 0xbf59a7d5, v137
	v_mul_f32_e32 v170, 0xbf06c442, v138
	v_fmamk_f32 v57, v75, 0x3f7ee86f, v59
	v_mul_f32_e32 v171, 0x3dbcf732, v70
	v_mul_f32_e32 v184, 0xbf59a7d5, v70
	;; [unrolled: 1-line block ×4, first 2 shown]
	v_dual_add_f32 v56, v57, v56 :: v_dual_fmamk_f32 v57, v74, 0x3f763a35, v58
	v_dual_mul_f32 v183, 0x3eb8f4ab, v138 :: v_dual_mul_f32 v202, 0x3eb8f4ab, v79
	v_mul_f32_e32 v189, 0x3f2c7751, v64
	v_dual_mul_f32 v185, 0x3ee437d1, v77 :: v_dual_mul_f32 v198, 0x3ee437d1, v76
	s_delay_alu instid0(VALU_DEP_4) | instskip(SKIP_4) | instid1(VALU_DEP_4)
	v_add_f32_e32 v56, v57, v56
	v_mul_f32_e32 v57, 0xbf1a4643, v116
	v_dual_add_f32 v129, v81, v120 :: v_dual_mul_f32 v120, 0xbf7ee86f, v79
	v_mul_f32_e32 v81, 0xbf763a35, v78
	v_dual_mul_f32 v191, 0xbe3c28d5, v78 :: v_dual_mul_f32 v200, 0xbe3c28d5, v65
	v_fmamk_f32 v62, v114, 0x3f4c4adb, v57
	v_mul_f32_e32 v186, 0xbf7ba420, v76
	v_dual_mul_f32 v190, 0xbf65296c, v79 :: v_dual_mul_f32 v203, 0xbf65296c, v78
	s_delay_alu instid0(VALU_DEP_3)
	v_dual_mul_f32 v195, 0xbf4c4adb, v138 :: v_dual_add_f32 v62, v62, v56
	v_mul_f32_e32 v56, 0xbf59a7d5, v115
	v_mul_f32_e32 v182, 0x3f6eb680, v137
	;; [unrolled: 1-line block ×5, first 2 shown]
	v_fmamk_f32 v63, v113, 0x3f06c442, v56
	v_mul_f32_e32 v197, 0x3f6eb680, v77
	v_dual_mul_f32 v201, 0x3f763a35, v64 :: v_dual_mul_f32 v224, 0x3f763a35, v65
	v_mul_f32_e32 v207, 0x3f2c7751, v138
	s_delay_alu instid0(VALU_DEP_4)
	v_add_f32_e32 v82, v63, v62
	v_fmamk_f32 v62, v23, 0x3f3d2fb0, v122
	v_fmamk_f32 v63, v22, 0x3ee437d1, v121
	v_mul_f32_e32 v208, 0x3f65296c, v21
	v_mul_f32_e32 v222, 0x3dbcf732, v76
	;; [unrolled: 1-line block ×3, first 2 shown]
	v_add_f32_e32 v62, v62, v131
	v_mul_f32_e32 v212, 0xbe3c28d5, v114
	v_mul_f32_e32 v221, 0xbf59a7d5, v77
	;; [unrolled: 1-line block ×3, first 2 shown]
	s_delay_alu instid0(VALU_DEP_4) | instskip(SKIP_3) | instid1(VALU_DEP_4)
	v_dual_fmac_f32 v61, 0xbf2c7751, v21 :: v_dual_add_f32 v62, v63, v62
	v_fmamk_f32 v63, v69, 0x3dbcf732, v120
	v_fmac_f32_e32 v59, 0xbf7ee86f, v75
	v_fmac_f32_e32 v57, 0xbf4c4adb, v114
	v_add_f32_e32 v6, v61, v6
	v_mul_f32_e32 v220, 0xbe8c1d8e, v70
	v_dual_add_f32 v62, v63, v62 :: v_dual_fmamk_f32 v63, v68, 0xbe8c1d8e, v81
	v_mul_f32_e32 v206, 0x3f3d2fb0, v137
	v_fmac_f32_e32 v60, 0xbf65296c, v20
	v_fmac_f32_e32 v58, 0xbf763a35, v74
	;; [unrolled: 1-line block ×3, first 2 shown]
	v_dual_add_f32 v62, v63, v62 :: v_dual_fmamk_f32 v63, v73, 0xbf1a4643, v67
	s_delay_alu instid0(VALU_DEP_4) | instskip(NEXT) | instid1(VALU_DEP_2)
	v_add_f32_e32 v6, v60, v6
	v_dual_add_f32 v62, v63, v62 :: v_dual_mul_f32 v63, 0xbf06c442, v117
	s_delay_alu instid0(VALU_DEP_1) | instskip(NEXT) | instid1(VALU_DEP_1)
	v_dual_add_f32 v6, v59, v6 :: v_dual_fmamk_f32 v131, v72, 0xbf59a7d5, v63
	v_add_f32_e32 v6, v58, v6
	s_delay_alu instid0(VALU_DEP_2) | instskip(NEXT) | instid1(VALU_DEP_2)
	v_dual_add_f32 v131, v131, v62 :: v_dual_mul_f32 v62, 0xbf7ba420, v137
	v_add_f32_e32 v6, v57, v6
	s_delay_alu instid0(VALU_DEP_2) | instskip(NEXT) | instid1(VALU_DEP_2)
	v_fmamk_f32 v132, v4, 0x3e3c28d5, v62
	v_add_f32_e32 v6, v56, v6
	s_delay_alu instid0(VALU_DEP_2) | instskip(SKIP_1) | instid1(VALU_DEP_1)
	v_add_f32_e32 v132, v132, v82
	v_mul_f32_e32 v82, 0xbe3c28d5, v138
	v_fmamk_f32 v133, v5, 0xbf7ba420, v82
	s_delay_alu instid0(VALU_DEP_1) | instskip(SKIP_1) | instid1(VALU_DEP_1)
	v_dual_fmac_f32 v62, 0xbe3c28d5, v4 :: v_dual_add_f32 v131, v133, v131
	v_fmamk_f32 v133, v21, 0x3f4c4adb, v159
	v_dual_add_f32 v133, v133, v154 :: v_dual_mul_f32 v154, 0xbf7ba420, v71
	s_delay_alu instid0(VALU_DEP_1) | instskip(NEXT) | instid1(VALU_DEP_1)
	v_fmamk_f32 v134, v20, 0xbe3c28d5, v154
	v_dual_add_f32 v133, v134, v133 :: v_dual_fmamk_f32 v134, v75, 0xbf763a35, v160
	s_delay_alu instid0(VALU_DEP_1) | instskip(SKIP_1) | instid1(VALU_DEP_1)
	v_add_f32_e32 v133, v134, v133
	v_fmamk_f32 v134, v74, 0xbf2c7751, v161
	v_dual_add_f32 v133, v134, v133 :: v_dual_mul_f32 v162, 0x3f6eb680, v116
	v_fmac_f32_e32 v154, 0x3e3c28d5, v20
	s_delay_alu instid0(VALU_DEP_2) | instskip(NEXT) | instid1(VALU_DEP_1)
	v_fmamk_f32 v134, v114, 0x3eb8f4ab, v162
	v_dual_add_f32 v133, v134, v133 :: v_dual_fmamk_f32 v134, v23, 0xbf1a4643, v163
	v_fmac_f32_e32 v159, 0xbf4c4adb, v21
	v_fmac_f32_e32 v162, 0xbeb8f4ab, v114
	s_delay_alu instid0(VALU_DEP_3) | instskip(NEXT) | instid1(VALU_DEP_3)
	v_add_f32_e32 v134, v134, v143
	v_dual_mul_f32 v143, 0x3dbcf732, v115 :: v_dual_add_f32 v124, v159, v124
	s_delay_alu instid0(VALU_DEP_1) | instskip(NEXT) | instid1(VALU_DEP_1)
	v_dual_fmamk_f32 v135, v113, 0x3f7ee86f, v143 :: v_dual_add_f32 v124, v154, v124
	v_add_f32_e32 v133, v135, v133
	v_fmamk_f32 v135, v22, 0xbf7ba420, v164
	s_delay_alu instid0(VALU_DEP_1) | instskip(SKIP_1) | instid1(VALU_DEP_2)
	v_dual_add_f32 v134, v135, v134 :: v_dual_fmamk_f32 v135, v69, 0xbe8c1d8e, v165
	v_fmac_f32_e32 v160, 0x3f763a35, v75
	v_dual_add_f32 v134, v135, v134 :: v_dual_fmamk_f32 v135, v68, 0x3f3d2fb0, v166
	s_delay_alu instid0(VALU_DEP_2) | instskip(NEXT) | instid1(VALU_DEP_2)
	v_add_f32_e32 v124, v160, v124
	v_dual_add_f32 v134, v135, v134 :: v_dual_fmamk_f32 v135, v73, 0x3f6eb680, v167
	v_fmac_f32_e32 v161, 0x3f2c7751, v74
	s_delay_alu instid0(VALU_DEP_2) | instskip(NEXT) | instid1(VALU_DEP_1)
	v_dual_add_f32 v134, v135, v134 :: v_dual_fmamk_f32 v135, v72, 0x3dbcf732, v168
	v_dual_add_f32 v124, v161, v124 :: v_dual_add_f32 v135, v135, v134
	v_fmamk_f32 v134, v4, 0x3f06c442, v169
	s_delay_alu instid0(VALU_DEP_2) | instskip(NEXT) | instid1(VALU_DEP_2)
	v_add_f32_e32 v124, v162, v124
	v_dual_add_f32 v134, v134, v133 :: v_dual_fmamk_f32 v133, v5, 0xbf59a7d5, v170
	s_delay_alu instid0(VALU_DEP_1) | instskip(SKIP_1) | instid1(VALU_DEP_1)
	v_add_f32_e32 v133, v133, v135
	v_fmamk_f32 v135, v21, 0x3f7ee86f, v171
	v_add_f32_e32 v135, v135, v155
	v_mul_f32_e32 v155, 0xbf1a4643, v71
	s_delay_alu instid0(VALU_DEP_1) | instskip(NEXT) | instid1(VALU_DEP_1)
	v_fmamk_f32 v136, v20, 0x3f4c4adb, v155
	v_dual_add_f32 v135, v136, v135 :: v_dual_fmamk_f32 v136, v75, 0x3e3c28d5, v172
	v_fmac_f32_e32 v172, 0xbe3c28d5, v75
	s_delay_alu instid0(VALU_DEP_2) | instskip(NEXT) | instid1(VALU_DEP_1)
	v_dual_add_f32 v135, v136, v135 :: v_dual_fmamk_f32 v136, v74, 0xbf06c442, v173
	v_dual_add_f32 v135, v136, v135 :: v_dual_mul_f32 v174, 0xbe8c1d8e, v116
	s_delay_alu instid0(VALU_DEP_1) | instskip(NEXT) | instid1(VALU_DEP_1)
	v_fmamk_f32 v136, v114, 0xbf763a35, v174
	v_dual_add_f32 v135, v136, v135 :: v_dual_fmamk_f32 v136, v23, 0x3dbcf732, v175
	v_fmac_f32_e32 v143, 0xbf7ee86f, v113
	v_fmac_f32_e32 v174, 0x3f763a35, v114
	s_delay_alu instid0(VALU_DEP_3) | instskip(SKIP_1) | instid1(VALU_DEP_4)
	v_add_f32_e32 v136, v136, v144
	v_mul_f32_e32 v144, 0x3ee437d1, v115
	v_add_f32_e32 v124, v143, v124
	s_delay_alu instid0(VALU_DEP_2) | instskip(NEXT) | instid1(VALU_DEP_1)
	v_fmamk_f32 v176, v113, 0xbf65296c, v144
	v_dual_add_f32 v135, v176, v135 :: v_dual_mul_f32 v176, 0xbf4c4adb, v64
	s_delay_alu instid0(VALU_DEP_1) | instskip(NEXT) | instid1(VALU_DEP_1)
	v_fmamk_f32 v177, v22, 0xbf1a4643, v176
	v_dual_add_f32 v136, v177, v136 :: v_dual_mul_f32 v177, 0xbe3c28d5, v79
	s_delay_alu instid0(VALU_DEP_1) | instskip(NEXT) | instid1(VALU_DEP_1)
	v_fmamk_f32 v178, v69, 0xbf7ba420, v177
	v_add_f32_e32 v136, v178, v136
	v_mul_f32_e32 v178, 0x3f06c442, v78
	s_delay_alu instid0(VALU_DEP_1) | instskip(NEXT) | instid1(VALU_DEP_1)
	v_fmamk_f32 v179, v68, 0xbf59a7d5, v178
	v_dual_add_f32 v136, v179, v136 :: v_dual_mul_f32 v179, 0x3f763a35, v118
	s_delay_alu instid0(VALU_DEP_1) | instskip(NEXT) | instid1(VALU_DEP_1)
	v_fmamk_f32 v180, v73, 0xbe8c1d8e, v179
	v_add_f32_e32 v136, v180, v136
	v_mul_f32_e32 v180, 0x3f65296c, v117
	s_delay_alu instid0(VALU_DEP_1) | instskip(NEXT) | instid1(VALU_DEP_1)
	v_fmamk_f32 v181, v72, 0x3ee437d1, v180
	v_dual_fmac_f32 v144, 0x3f65296c, v113 :: v_dual_add_f32 v181, v181, v136
	v_fmamk_f32 v136, v4, 0xbeb8f4ab, v182
	s_delay_alu instid0(VALU_DEP_1) | instskip(SKIP_1) | instid1(VALU_DEP_2)
	v_dual_add_f32 v136, v136, v135 :: v_dual_fmamk_f32 v135, v5, 0x3f6eb680, v183
	v_fmac_f32_e32 v169, 0xbf06c442, v4
	v_dual_fmac_f32 v182, 0x3eb8f4ab, v4 :: v_dual_add_f32 v135, v135, v181
	v_mul_lo_u16 v181, v98, 17
	s_delay_alu instid0(VALU_DEP_1) | instskip(NEXT) | instid1(VALU_DEP_1)
	v_dual_add_f32 v124, v169, v124 :: v_dual_and_b32 v181, 0xffff, v181
	v_lshlrev_b32_e32 v181, 3, v181
	ds_store_2addr_b64 v181, v[129:130], v[131:132] offset1:1
	ds_store_2addr_b64 v181, v[135:136], v[133:134] offset0:2 offset1:3
	v_fmamk_f32 v129, v21, 0xbf06c442, v184
	v_mul_f32_e32 v136, 0xbf763a35, v138
	s_delay_alu instid0(VALU_DEP_2) | instskip(SKIP_1) | instid1(VALU_DEP_3)
	v_dual_fmac_f32 v184, 0x3f06c442, v21 :: v_dual_add_f32 v129, v129, v152
	v_mul_f32_e32 v152, 0x3f3d2fb0, v71
	v_fma_f32 v218, 0xbe8c1d8e, v5, -v136
	v_fmac_f32_e32 v136, 0xbe8c1d8e, v5
	s_delay_alu instid0(VALU_DEP_3) | instskip(NEXT) | instid1(VALU_DEP_1)
	v_fmamk_f32 v130, v20, 0xbf2c7751, v152
	v_dual_add_f32 v129, v130, v129 :: v_dual_fmamk_f32 v130, v75, 0x3f65296c, v185
	v_fmac_f32_e32 v185, 0xbf65296c, v75
	s_delay_alu instid0(VALU_DEP_2) | instskip(SKIP_1) | instid1(VALU_DEP_1)
	v_add_f32_e32 v129, v130, v129
	v_fmamk_f32 v130, v74, 0x3e3c28d5, v186
	v_add_f32_e32 v129, v130, v129
	v_fmamk_f32 v130, v114, 0xbf7ee86f, v187
	s_delay_alu instid0(VALU_DEP_1) | instskip(NEXT) | instid1(VALU_DEP_1)
	v_dual_add_f32 v129, v130, v129 :: v_dual_fmamk_f32 v130, v23, 0xbf59a7d5, v188
	v_dual_add_f32 v130, v130, v141 :: v_dual_mul_f32 v141, 0x3f6eb680, v115
	s_delay_alu instid0(VALU_DEP_1) | instskip(NEXT) | instid1(VALU_DEP_1)
	v_fmamk_f32 v131, v113, 0x3eb8f4ab, v141
	v_add_f32_e32 v129, v131, v129
	v_fmamk_f32 v131, v22, 0x3f3d2fb0, v189
	v_fmac_f32_e32 v152, 0x3f2c7751, v20
	s_delay_alu instid0(VALU_DEP_2) | instskip(NEXT) | instid1(VALU_DEP_1)
	v_dual_add_f32 v130, v131, v130 :: v_dual_fmamk_f32 v131, v69, 0x3ee437d1, v190
	v_dual_add_f32 v130, v131, v130 :: v_dual_fmamk_f32 v131, v68, 0xbf7ba420, v191
	v_fmac_f32_e32 v186, 0xbe3c28d5, v74
	s_delay_alu instid0(VALU_DEP_2) | instskip(SKIP_1) | instid1(VALU_DEP_1)
	v_dual_fmac_f32 v155, 0xbf4c4adb, v20 :: v_dual_add_f32 v130, v131, v130
	v_fmamk_f32 v131, v73, 0x3dbcf732, v192
	v_dual_add_f32 v130, v131, v130 :: v_dual_fmamk_f32 v131, v72, 0x3f6eb680, v193
	s_delay_alu instid0(VALU_DEP_1) | instskip(NEXT) | instid1(VALU_DEP_1)
	v_dual_add_f32 v131, v131, v130 :: v_dual_fmamk_f32 v130, v4, 0x3f4c4adb, v194
	v_dual_add_f32 v130, v130, v129 :: v_dual_fmamk_f32 v129, v5, 0xbf1a4643, v195
	s_delay_alu instid0(VALU_DEP_1) | instskip(SKIP_1) | instid1(VALU_DEP_1)
	v_dual_fmac_f32 v194, 0xbf4c4adb, v4 :: v_dual_add_f32 v129, v129, v131
	v_fmamk_f32 v131, v21, 0x3e3c28d5, v196
	v_add_f32_e32 v131, v131, v153
	v_mul_f32_e32 v153, 0xbe8c1d8e, v71
	s_delay_alu instid0(VALU_DEP_1) | instskip(SKIP_1) | instid1(VALU_DEP_2)
	v_fmamk_f32 v132, v20, 0xbf763a35, v153
	v_fmac_f32_e32 v153, 0x3f763a35, v20
	v_dual_add_f32 v131, v132, v131 :: v_dual_fmamk_f32 v132, v75, 0xbeb8f4ab, v197
	s_delay_alu instid0(VALU_DEP_1) | instskip(NEXT) | instid1(VALU_DEP_1)
	v_dual_add_f32 v131, v132, v131 :: v_dual_fmamk_f32 v132, v74, 0x3f65296c, v198
	v_dual_fmac_f32 v198, 0xbf65296c, v74 :: v_dual_add_f32 v131, v132, v131
	v_fmamk_f32 v132, v114, 0x3f06c442, v199
	s_delay_alu instid0(VALU_DEP_1) | instskip(SKIP_1) | instid1(VALU_DEP_2)
	v_dual_add_f32 v131, v132, v131 :: v_dual_fmamk_f32 v132, v23, 0xbf7ba420, v200
	v_fmac_f32_e32 v196, 0xbe3c28d5, v21
	v_add_f32_e32 v132, v132, v142
	v_mul_f32_e32 v142, 0xbf1a4643, v115
	s_delay_alu instid0(VALU_DEP_1) | instskip(NEXT) | instid1(VALU_DEP_1)
	v_fmamk_f32 v133, v113, 0xbf4c4adb, v142
	v_add_f32_e32 v131, v133, v131
	v_fmamk_f32 v133, v22, 0xbe8c1d8e, v201
	s_delay_alu instid0(VALU_DEP_1) | instskip(SKIP_1) | instid1(VALU_DEP_1)
	v_add_f32_e32 v132, v133, v132
	v_fmamk_f32 v133, v69, 0x3f6eb680, v202
	v_dual_add_f32 v132, v133, v132 :: v_dual_fmamk_f32 v133, v68, 0x3ee437d1, v203
	s_delay_alu instid0(VALU_DEP_1) | instskip(SKIP_1) | instid1(VALU_DEP_1)
	v_add_f32_e32 v132, v133, v132
	v_fmamk_f32 v133, v73, 0xbf59a7d5, v204
	v_dual_fmac_f32 v141, 0xbeb8f4ab, v113 :: v_dual_add_f32 v132, v133, v132
	v_fmamk_f32 v133, v72, 0xbf1a4643, v205
	s_delay_alu instid0(VALU_DEP_1) | instskip(SKIP_2) | instid1(VALU_DEP_2)
	v_dual_fmac_f32 v142, 0x3f4c4adb, v113 :: v_dual_add_f32 v133, v133, v132
	v_fmamk_f32 v132, v4, 0xbf2c7751, v206
	v_fmac_f32_e32 v206, 0x3f2c7751, v4
	v_dual_add_f32 v132, v132, v131 :: v_dual_fmamk_f32 v131, v5, 0x3f3d2fb0, v207
	v_fmac_f32_e32 v187, 0x3f7ee86f, v114
	s_delay_alu instid0(VALU_DEP_2) | instskip(SKIP_1) | instid1(VALU_DEP_1)
	v_add_f32_e32 v131, v131, v133
	v_fma_f32 v133, 0x3ee437d1, v70, -v208
	v_add_f32_e32 v133, v133, v149
	v_mul_f32_e32 v149, 0xbf7ee86f, v20
	s_delay_alu instid0(VALU_DEP_1) | instskip(NEXT) | instid1(VALU_DEP_1)
	v_fma_f32 v134, 0x3dbcf732, v71, -v149
	v_add_f32_e32 v133, v134, v133
	v_fma_f32 v134, 0xbf1a4643, v77, -v209
	s_delay_alu instid0(VALU_DEP_1) | instskip(SKIP_1) | instid1(VALU_DEP_1)
	v_add_f32_e32 v133, v134, v133
	v_mul_f32_e32 v134, 0x3f65296c, v65
	v_fma_f32 v210, 0x3ee437d1, v23, -v134
	v_fmac_f32_e32 v134, 0x3ee437d1, v23
	s_delay_alu instid0(VALU_DEP_1) | instskip(SKIP_1) | instid1(VALU_DEP_1)
	v_add_f32_e32 v134, v134, v150
	v_mul_f32_e32 v150, 0xbeb8f4ab, v74
	v_fma_f32 v135, 0x3f6eb680, v76, -v150
	s_delay_alu instid0(VALU_DEP_1) | instskip(SKIP_1) | instid1(VALU_DEP_1)
	v_add_f32_e32 v133, v135, v133
	v_mul_f32_e32 v135, 0xbf7ee86f, v64
	v_fma_f32 v211, 0x3dbcf732, v22, -v135
	v_fmac_f32_e32 v135, 0x3dbcf732, v22
	s_delay_alu instid0(VALU_DEP_1) | instskip(SKIP_1) | instid1(VALU_DEP_1)
	v_add_f32_e32 v134, v135, v134
	v_fma_f32 v135, 0xbf7ba420, v116, -v212
	v_add_f32_e32 v133, v135, v133
	v_mul_f32_e32 v135, 0x3f4c4adb, v79
	s_delay_alu instid0(VALU_DEP_1) | instskip(SKIP_1) | instid1(VALU_DEP_1)
	v_fma_f32 v213, 0xbf1a4643, v69, -v135
	v_fmac_f32_e32 v135, 0xbf1a4643, v69
	v_add_f32_e32 v134, v135, v134
	v_fma_f32 v135, 0x3f3d2fb0, v115, -v214
	s_delay_alu instid0(VALU_DEP_1) | instskip(SKIP_1) | instid1(VALU_DEP_1)
	v_add_f32_e32 v133, v135, v133
	v_mul_f32_e32 v135, 0xbeb8f4ab, v78
	v_fma_f32 v215, 0x3f6eb680, v68, -v135
	v_fmac_f32_e32 v135, 0x3f6eb680, v68
	s_delay_alu instid0(VALU_DEP_1) | instskip(SKIP_1) | instid1(VALU_DEP_1)
	v_add_f32_e32 v134, v135, v134
	v_mul_f32_e32 v135, 0xbe3c28d5, v118
	v_fma_f32 v216, 0xbf7ba420, v73, -v135
	v_fmac_f32_e32 v135, 0xbf7ba420, v73
	s_delay_alu instid0(VALU_DEP_1) | instskip(NEXT) | instid1(VALU_DEP_1)
	v_dual_add_f32 v134, v135, v134 :: v_dual_mul_f32 v135, 0x3f2c7751, v117
	v_fma_f32 v217, 0x3f3d2fb0, v72, -v135
	v_fmac_f32_e32 v135, 0x3f3d2fb0, v72
	s_delay_alu instid0(VALU_DEP_1) | instskip(SKIP_1) | instid1(VALU_DEP_1)
	v_add_f32_e32 v135, v135, v134
	v_fma_f32 v134, 0xbe8c1d8e, v137, -v219
	v_dual_add_f32 v134, v134, v133 :: v_dual_add_f32 v133, v136, v135
	v_fmamk_f32 v135, v21, 0xbf763a35, v220
	s_delay_alu instid0(VALU_DEP_1) | instskip(SKIP_1) | instid1(VALU_DEP_1)
	v_dual_fmac_f32 v220, 0x3f763a35, v21 :: v_dual_add_f32 v135, v135, v151
	v_mul_f32_e32 v151, 0x3f6eb680, v71
	v_fmamk_f32 v136, v20, 0x3eb8f4ab, v151
	s_delay_alu instid0(VALU_DEP_1) | instskip(NEXT) | instid1(VALU_DEP_1)
	v_dual_add_f32 v135, v136, v135 :: v_dual_fmamk_f32 v136, v75, 0x3f06c442, v221
	v_dual_add_f32 v135, v136, v135 :: v_dual_fmamk_f32 v136, v74, 0xbf7ee86f, v222
	s_delay_alu instid0(VALU_DEP_1) | instskip(NEXT) | instid1(VALU_DEP_1)
	v_dual_add_f32 v135, v136, v135 :: v_dual_fmamk_f32 v136, v114, 0x3f2c7751, v223
	v_dual_fmac_f32 v222, 0x3f7ee86f, v74 :: v_dual_add_f32 v135, v136, v135
	v_fmamk_f32 v136, v23, 0xbe8c1d8e, v224
	s_delay_alu instid0(VALU_DEP_1) | instskip(SKIP_2) | instid1(VALU_DEP_2)
	v_add_f32_e32 v136, v136, v140
	v_mul_f32_e32 v140, 0xbf7ba420, v115
	v_fmac_f32_e32 v197, 0x3eb8f4ab, v75
	v_fmamk_f32 v225, v113, 0x3e3c28d5, v140
	s_delay_alu instid0(VALU_DEP_1) | instskip(SKIP_1) | instid1(VALU_DEP_1)
	v_dual_fmac_f32 v140, 0xbe3c28d5, v113 :: v_dual_add_f32 v135, v225, v135
	v_mul_f32_e32 v225, 0xbeb8f4ab, v64
	v_fmamk_f32 v226, v22, 0x3f6eb680, v225
	s_delay_alu instid0(VALU_DEP_1) | instskip(SKIP_1) | instid1(VALU_DEP_1)
	v_add_f32_e32 v136, v226, v136
	v_mul_f32_e32 v226, 0xbf06c442, v79
	v_fmamk_f32 v227, v69, 0xbf59a7d5, v226
	s_delay_alu instid0(VALU_DEP_1) | instskip(SKIP_1) | instid1(VALU_DEP_2)
	v_dual_add_f32 v136, v227, v136 :: v_dual_mul_f32 v227, 0x3f7ee86f, v78
	v_mul_f32_e32 v78, 0xbf4c4adb, v78
	v_fmamk_f32 v228, v68, 0x3dbcf732, v227
	s_delay_alu instid0(VALU_DEP_1) | instskip(SKIP_3) | instid1(VALU_DEP_3)
	v_add_f32_e32 v136, v228, v136
	v_mul_f32_e32 v228, 0xbf2c7751, v118
	v_mul_f32_e32 v118, 0x3f65296c, v118
	;; [unrolled: 1-line block ×3, first 2 shown]
	v_fmamk_f32 v229, v73, 0x3f3d2fb0, v228
	s_delay_alu instid0(VALU_DEP_1) | instskip(NEXT) | instid1(VALU_DEP_1)
	v_dual_add_f32 v136, v229, v136 :: v_dual_mul_f32 v229, 0xbe3c28d5, v117
	v_fmamk_f32 v230, v72, 0xbf7ba420, v229
	s_delay_alu instid0(VALU_DEP_1) | instskip(SKIP_1) | instid1(VALU_DEP_1)
	v_add_f32_e32 v230, v230, v136
	v_fmamk_f32 v136, v4, 0xbf65296c, v231
	v_dual_add_f32 v136, v136, v135 :: v_dual_fmamk_f32 v135, v5, 0x3ee437d1, v232
	v_fmac_f32_e32 v199, 0xbf06c442, v114
	s_delay_alu instid0(VALU_DEP_2) | instskip(SKIP_4) | instid1(VALU_DEP_2)
	v_add_f32_e32 v135, v135, v230
	ds_store_2addr_b64 v181, v[131:132], v[129:130] offset0:4 offset1:5
	ds_store_2addr_b64 v181, v[135:136], v[133:134] offset0:6 offset1:7
	v_mul_f32_e32 v129, 0x3f6eb680, v70
	v_dual_mul_f32 v135, 0x3ee437d1, v116 :: v_dual_fmamk_f32 v70, v70, 0x3ee437d1, v208
	v_fmamk_f32 v130, v21, 0xbeb8f4ab, v129
	s_delay_alu instid0(VALU_DEP_2) | instskip(NEXT) | instid1(VALU_DEP_2)
	v_dual_add_f32 v70, v70, v146 :: v_dual_mul_f32 v131, 0xbf59a7d5, v71
	v_dual_fmamk_f32 v71, v71, 0x3dbcf732, v149 :: v_dual_add_f32 v130, v130, v148
	s_delay_alu instid0(VALU_DEP_1) | instskip(NEXT) | instid1(VALU_DEP_3)
	v_add_f32_e32 v70, v71, v70
	v_fmamk_f32 v132, v20, 0x3f06c442, v131
	s_delay_alu instid0(VALU_DEP_1) | instskip(SKIP_2) | instid1(VALU_DEP_1)
	v_dual_fmac_f32 v131, 0xbf06c442, v20 :: v_dual_add_f32 v130, v132, v130
	v_mul_f32_e32 v132, 0x3f3d2fb0, v77
	v_fmamk_f32 v77, v77, 0xbf1a4643, v209
	v_dual_fmamk_f32 v133, v75, 0xbf2c7751, v132 :: v_dual_add_f32 v70, v77, v70
	v_fmac_f32_e32 v132, 0x3f2c7751, v75
	s_delay_alu instid0(VALU_DEP_2) | instskip(SKIP_2) | instid1(VALU_DEP_1)
	v_dual_fmamk_f32 v77, v116, 0xbf7ba420, v212 :: v_dual_add_f32 v130, v133, v130
	v_mul_f32_e32 v133, 0xbf1a4643, v76
	v_fmamk_f32 v76, v76, 0x3f6eb680, v150
	v_dual_fmac_f32 v129, 0x3eb8f4ab, v21 :: v_dual_add_f32 v70, v76, v70
	s_delay_alu instid0(VALU_DEP_1) | instskip(SKIP_2) | instid1(VALU_DEP_3)
	v_add_f32_e32 v129, v129, v145
	v_mul_f32_e32 v79, 0x3f2c7751, v79
	v_fmamk_f32 v76, v115, 0x3f3d2fb0, v214
	v_dual_add_f32 v70, v77, v70 :: v_dual_add_f32 v129, v131, v129
	v_fmamk_f32 v134, v74, 0x3f4c4adb, v133
	s_delay_alu instid0(VALU_DEP_2) | instskip(NEXT) | instid1(VALU_DEP_2)
	v_add_f32_e32 v70, v76, v70
	v_dual_add_f32 v129, v132, v129 :: v_dual_add_f32 v130, v134, v130
	v_mul_f32_e32 v134, 0x3eb8f4ab, v65
	v_fmamk_f32 v136, v114, 0xbf65296c, v135
	v_fmac_f32_e32 v135, 0x3f65296c, v114
	v_fmamk_f32 v76, v137, 0xbe8c1d8e, v219
	s_delay_alu instid0(VALU_DEP_4) | instskip(NEXT) | instid1(VALU_DEP_4)
	v_fma_f32 v131, 0x3f6eb680, v23, -v134
	v_add_f32_e32 v130, v136, v130
	v_mul_f32_e32 v136, 0xbf06c442, v64
	s_delay_alu instid0(VALU_DEP_3) | instskip(SKIP_1) | instid1(VALU_DEP_3)
	v_add_f32_e32 v131, v131, v156
	v_fmamk_f32 v65, v23, 0x3f6eb680, v134
	v_fmamk_f32 v64, v22, 0xbf59a7d5, v136
	v_fmac_f32_e32 v221, 0xbf06c442, v75
	s_delay_alu instid0(VALU_DEP_3) | instskip(NEXT) | instid1(VALU_DEP_1)
	v_add_f32_e32 v65, v65, v139
	v_dual_add_f32 v64, v64, v65 :: v_dual_fmamk_f32 v65, v69, 0x3f3d2fb0, v79
	v_fma_f32 v79, 0x3f3d2fb0, v69, -v79
	s_delay_alu instid0(VALU_DEP_2) | instskip(SKIP_4) | instid1(VALU_DEP_2)
	v_add_f32_e32 v64, v65, v64
	v_fmac_f32_e32 v151, 0xbeb8f4ab, v20
	v_mul_f32_e32 v117, 0xbf763a35, v117
	v_mul_f32_e32 v139, 0xbe8c1d8e, v115
	v_fma_f32 v20, 0x3ee437d1, v22, -v121
	v_fmamk_f32 v65, v113, 0x3f763a35, v139
	s_delay_alu instid0(VALU_DEP_1) | instskip(NEXT) | instid1(VALU_DEP_1)
	v_dual_add_f32 v65, v65, v130 :: v_dual_fmamk_f32 v130, v68, 0xbf1a4643, v78
	v_dual_fmac_f32 v133, 0xbf4c4adb, v74 :: v_dual_add_f32 v64, v130, v64
	s_delay_alu instid0(VALU_DEP_1) | instskip(NEXT) | instid1(VALU_DEP_1)
	v_add_f32_e32 v129, v133, v129
	v_add_f32_e32 v129, v135, v129
	v_fma_f32 v132, 0xbf59a7d5, v22, -v136
	s_delay_alu instid0(VALU_DEP_1) | instskip(SKIP_1) | instid1(VALU_DEP_2)
	v_dual_add_f32 v131, v132, v131 :: v_dual_fmamk_f32 v130, v73, 0x3ee437d1, v118
	v_fmac_f32_e32 v231, 0x3f65296c, v4
	v_dual_add_f32 v79, v79, v131 :: v_dual_add_f32 v64, v130, v64
	v_fmamk_f32 v130, v72, 0xbe8c1d8e, v117
	s_delay_alu instid0(VALU_DEP_1) | instskip(NEXT) | instid1(VALU_DEP_1)
	v_dual_fmac_f32 v139, 0xbf763a35, v113 :: v_dual_add_f32 v64, v130, v64
	v_dual_mul_f32 v130, 0x3f7ee86f, v138 :: v_dual_add_f32 v129, v139, v129
	v_fma_f32 v78, 0xbf1a4643, v68, -v78
	v_mul_f32_e32 v138, 0x3dbcf732, v137
	s_delay_alu instid0(VALU_DEP_2) | instskip(SKIP_3) | instid1(VALU_DEP_3)
	v_add_f32_e32 v78, v78, v79
	v_fma_f32 v79, 0x3ee437d1, v73, -v118
	v_fmac_f32_e32 v223, 0xbf2c7751, v114
	v_fma_f32 v118, 0xbf1a4643, v5, -v195
	v_add_f32_e32 v78, v79, v78
	v_fma_f32 v79, 0xbe8c1d8e, v72, -v117
	v_fma_f32 v117, 0x3dbcf732, v5, -v130
	;; [unrolled: 1-line block ×3, first 2 shown]
	s_delay_alu instid0(VALU_DEP_3) | instskip(NEXT) | instid1(VALU_DEP_1)
	v_add_f32_e32 v78, v79, v78
	v_dual_add_f32 v78, v117, v78 :: v_dual_add_f32 v117, v210, v147
	v_fmamk_f32 v148, v4, 0xbf7ee86f, v138
	s_delay_alu instid0(VALU_DEP_2) | instskip(SKIP_1) | instid1(VALU_DEP_2)
	v_dual_fmac_f32 v138, 0x3f7ee86f, v4 :: v_dual_add_f32 v71, v211, v117
	v_fma_f32 v117, 0x3f3d2fb0, v22, -v189
	v_add_f32_e32 v79, v138, v129
	s_delay_alu instid0(VALU_DEP_4) | instskip(NEXT) | instid1(VALU_DEP_4)
	v_dual_add_f32 v65, v148, v65 :: v_dual_fmamk_f32 v148, v5, 0x3dbcf732, v130
	v_add_f32_e32 v71, v213, v71
	v_fma_f32 v116, 0x3ee437d1, v5, -v232
	s_delay_alu instid0(VALU_DEP_2) | instskip(NEXT) | instid1(VALU_DEP_1)
	v_dual_add_f32 v64, v148, v64 :: v_dual_add_f32 v71, v215, v71
	v_add_f32_e32 v71, v216, v71
	s_delay_alu instid0(VALU_DEP_1) | instskip(NEXT) | instid1(VALU_DEP_1)
	v_add_f32_e32 v77, v217, v71
	v_dual_add_f32 v71, v76, v70 :: v_dual_add_f32 v70, v218, v77
	v_fma_f32 v77, 0xbe8c1d8e, v23, -v224
	s_delay_alu instid0(VALU_DEP_1) | instskip(NEXT) | instid1(VALU_DEP_1)
	v_dual_add_f32 v77, v77, v158 :: v_dual_add_f32 v76, v220, v157
	v_add_f32_e32 v77, v115, v77
	s_delay_alu instid0(VALU_DEP_2) | instskip(SKIP_1) | instid1(VALU_DEP_1)
	v_add_f32_e32 v76, v151, v76
	v_fma_f32 v115, 0xbf59a7d5, v69, -v226
	v_dual_add_f32 v76, v221, v76 :: v_dual_add_f32 v77, v115, v77
	v_fma_f32 v115, 0x3dbcf732, v68, -v227
	s_delay_alu instid0(VALU_DEP_1) | instskip(SKIP_1) | instid1(VALU_DEP_2)
	v_dual_add_f32 v76, v222, v76 :: v_dual_add_f32 v77, v115, v77
	v_fma_f32 v115, 0x3f3d2fb0, v73, -v228
	v_add_f32_e32 v76, v223, v76
	s_delay_alu instid0(VALU_DEP_2) | instskip(SKIP_1) | instid1(VALU_DEP_1)
	v_add_f32_e32 v77, v115, v77
	v_fma_f32 v115, 0xbf7ba420, v72, -v229
	v_dual_add_f32 v76, v140, v76 :: v_dual_add_f32 v115, v115, v77
	s_delay_alu instid0(VALU_DEP_1) | instskip(SKIP_2) | instid1(VALU_DEP_2)
	v_dual_add_f32 v77, v231, v76 :: v_dual_add_f32 v76, v116, v115
	v_fma_f32 v116, 0xbf59a7d5, v23, -v188
	v_add_f32_e32 v115, v184, v128
	v_add_f32_e32 v116, v116, v127
	s_delay_alu instid0(VALU_DEP_1) | instskip(SKIP_1) | instid1(VALU_DEP_2)
	v_dual_add_f32 v115, v152, v115 :: v_dual_add_f32 v116, v117, v116
	v_fma_f32 v117, 0x3ee437d1, v69, -v190
	v_add_f32_e32 v115, v185, v115
	s_delay_alu instid0(VALU_DEP_2) | instskip(SKIP_1) | instid1(VALU_DEP_1)
	v_add_f32_e32 v116, v117, v116
	v_fma_f32 v117, 0xbf7ba420, v68, -v191
	v_dual_add_f32 v115, v186, v115 :: v_dual_add_f32 v116, v117, v116
	v_fma_f32 v117, 0x3dbcf732, v73, -v192
	s_delay_alu instid0(VALU_DEP_1) | instskip(SKIP_1) | instid1(VALU_DEP_2)
	v_dual_add_f32 v115, v187, v115 :: v_dual_add_f32 v116, v117, v116
	v_fma_f32 v117, 0x3f6eb680, v72, -v193
	v_add_f32_e32 v115, v141, v115
	s_delay_alu instid0(VALU_DEP_1) | instskip(NEXT) | instid1(VALU_DEP_1)
	v_dual_add_f32 v117, v117, v116 :: v_dual_add_f32 v116, v194, v115
	v_add_f32_e32 v115, v118, v117
	v_fma_f32 v118, 0xbf7ba420, v23, -v200
	v_add_f32_e32 v117, v196, v126
	v_fma_f32 v126, 0x3f3d2fb0, v5, -v207
	s_delay_alu instid0(VALU_DEP_3) | instskip(SKIP_1) | instid1(VALU_DEP_4)
	v_add_f32_e32 v118, v118, v125
	v_fma_f32 v125, 0xbe8c1d8e, v22, -v201
	v_add_f32_e32 v117, v153, v117
	s_delay_alu instid0(VALU_DEP_2) | instskip(SKIP_1) | instid1(VALU_DEP_3)
	v_add_f32_e32 v118, v125, v118
	v_fma_f32 v125, 0x3f6eb680, v69, -v202
	v_add_f32_e32 v117, v197, v117
	s_delay_alu instid0(VALU_DEP_2) | instskip(SKIP_1) | instid1(VALU_DEP_1)
	v_add_f32_e32 v118, v125, v118
	v_fma_f32 v125, 0x3ee437d1, v68, -v203
	v_dual_add_f32 v117, v198, v117 :: v_dual_add_f32 v118, v125, v118
	v_fma_f32 v125, 0xbf59a7d5, v73, -v204
	s_delay_alu instid0(VALU_DEP_1) | instskip(SKIP_1) | instid1(VALU_DEP_2)
	v_dual_add_f32 v117, v199, v117 :: v_dual_add_f32 v118, v125, v118
	v_fma_f32 v125, 0xbf1a4643, v72, -v205
	v_add_f32_e32 v117, v142, v117
	s_delay_alu instid0(VALU_DEP_1) | instskip(NEXT) | instid1(VALU_DEP_1)
	v_dual_add_f32 v125, v125, v118 :: v_dual_add_f32 v118, v206, v117
	v_add_f32_e32 v117, v126, v125
	v_fma_f32 v125, 0xbf1a4643, v23, -v163
	s_delay_alu instid0(VALU_DEP_1) | instskip(SKIP_1) | instid1(VALU_DEP_1)
	v_add_f32_e32 v123, v125, v123
	v_fma_f32 v125, 0xbf7ba420, v22, -v164
	v_add_f32_e32 v123, v125, v123
	v_fma_f32 v125, 0xbe8c1d8e, v69, -v165
	s_delay_alu instid0(VALU_DEP_1) | instskip(SKIP_1) | instid1(VALU_DEP_1)
	v_add_f32_e32 v123, v125, v123
	v_fma_f32 v125, 0x3f3d2fb0, v68, -v166
	;; [unrolled: 5-line block ×5, first 2 shown]
	v_add_f32_e32 v66, v125, v66
	v_fma_f32 v125, 0xbf59a7d5, v68, -v178
	s_delay_alu instid0(VALU_DEP_1) | instskip(SKIP_3) | instid1(VALU_DEP_3)
	v_add_f32_e32 v66, v125, v66
	v_fma_f32 v125, 0xbe8c1d8e, v73, -v179
	v_fmac_f32_e32 v171, 0xbf7ee86f, v21
	v_fma_f32 v21, 0x3f3d2fb0, v23, -v122
	v_add_f32_e32 v66, v125, v66
	v_fma_f32 v125, 0x3ee437d1, v72, -v180
	s_delay_alu instid0(VALU_DEP_3) | instskip(NEXT) | instid1(VALU_DEP_2)
	v_add_f32_e32 v7, v21, v7
	v_dual_add_f32 v119, v171, v119 :: v_dual_add_f32 v66, v125, v66
	s_delay_alu instid0(VALU_DEP_2) | instskip(SKIP_1) | instid1(VALU_DEP_3)
	v_add_f32_e32 v7, v20, v7
	v_fma_f32 v20, 0x3dbcf732, v69, -v120
	v_add_f32_e32 v119, v155, v119
	v_fma_f32 v125, 0x3f6eb680, v5, -v183
	s_delay_alu instid0(VALU_DEP_3) | instskip(SKIP_1) | instid1(VALU_DEP_4)
	v_add_f32_e32 v7, v20, v7
	v_fma_f32 v20, 0xbe8c1d8e, v68, -v81
	v_add_f32_e32 v119, v172, v119
	s_delay_alu instid0(VALU_DEP_4) | instskip(NEXT) | instid1(VALU_DEP_3)
	v_add_f32_e32 v125, v125, v66
	v_add_f32_e32 v7, v20, v7
	v_fma_f32 v20, 0xbf1a4643, v73, -v67
	s_delay_alu instid0(VALU_DEP_1) | instskip(SKIP_1) | instid1(VALU_DEP_1)
	v_add_f32_e32 v7, v20, v7
	v_fma_f32 v20, 0xbf59a7d5, v72, -v63
	v_dual_fmac_f32 v173, 0x3f06c442, v74 :: v_dual_add_f32 v4, v20, v7
	s_delay_alu instid0(VALU_DEP_1) | instskip(SKIP_2) | instid1(VALU_DEP_2)
	v_add_f32_e32 v119, v173, v119
	v_fma_f32 v7, 0xbf7ba420, v5, -v82
	v_add_f32_e32 v5, v62, v6
	v_dual_add_f32 v119, v174, v119 :: v_dual_add_f32 v4, v7, v4
	s_delay_alu instid0(VALU_DEP_1) | instskip(NEXT) | instid1(VALU_DEP_1)
	v_add_f32_e32 v119, v144, v119
	v_add_f32_e32 v126, v182, v119
	ds_store_2addr_b64 v181, v[64:65], v[78:79] offset0:8 offset1:9
	ds_store_2addr_b64 v181, v[70:71], v[76:77] offset0:10 offset1:11
	;; [unrolled: 1-line block ×4, first 2 shown]
	ds_store_b64 v181, v[4:5] offset:128
.LBB0_13:
	s_or_b32 exec_lo, exec_lo, s0
	v_add_nc_u32_e32 v5, 0x1000, v99
	v_add_nc_u32_e32 v4, 0x2400, v99
	s_waitcnt lgkmcnt(0)
	s_barrier
	buffer_gl0_inv
	ds_load_2addr_b64 v[56:59], v5 offset0:100 offset1:253
	ds_load_2addr_b64 v[60:63], v4 offset0:72 offset1:225
	v_add_nc_u32_e32 v7, 0x1c00, v99
	v_add_nc_u32_e32 v6, 0x2e00, v99
	;; [unrolled: 1-line block ×3, first 2 shown]
	ds_load_2addr_b64 v[64:67], v7 offset0:22 offset1:175
	s_waitcnt lgkmcnt(2)
	v_mul_f32_e32 v21, v13, v57
	s_waitcnt lgkmcnt(1)
	v_dual_mul_f32 v13, v13, v56 :: v_dual_mul_f32 v22, v15, v61
	v_mul_f32_e32 v15, v15, v60
	ds_load_2addr_b64 v[68:71], v99 offset1:153
	ds_load_2addr_b64 v[72:75], v6 offset0:58 offset1:211
	ds_load_2addr_b64 v[76:79], v20 offset0:50 offset1:203
	v_mul_f32_e32 v23, v17, v59
	s_waitcnt lgkmcnt(3)
	v_dual_fmac_f32 v21, v12, v56 :: v_dual_mul_f32 v56, v1, v67
	v_mul_f32_e32 v82, v9, v65
	v_dual_mul_f32 v17, v17, v58 :: v_dual_fmac_f32 v22, v14, v60
	v_fmac_f32_e32 v23, v16, v58
	v_mul_f32_e32 v1, v1, v66
	v_dual_mul_f32 v81, v19, v63 :: v_dual_fmac_f32 v56, v0, v66
	v_fma_f32 v12, v12, v57, -v13
	v_mul_f32_e32 v19, v19, v62
	v_fma_f32 v13, v14, v61, -v15
	v_fmac_f32_e32 v82, v8, v64
	v_fma_f32 v14, v16, v59, -v17
	v_fma_f32 v58, v0, v67, -v1
	s_waitcnt lgkmcnt(2)
	v_dual_add_f32 v0, v21, v22 :: v_dual_add_f32 v1, v68, v21
	s_waitcnt lgkmcnt(1)
	v_mul_f32_e32 v17, v11, v73
	v_mul_f32_e32 v11, v11, v72
	;; [unrolled: 1-line block ×4, first 2 shown]
	v_fma_f32 v15, v18, v63, -v19
	v_fma_f32 v0, -0.5, v0, v68
	v_fmac_f32_e32 v81, v18, v62
	v_mul_f32_e32 v9, v9, v64
	v_fmac_f32_e32 v17, v10, v72
	v_fmac_f32_e32 v57, v2, v74
	v_fma_f32 v59, v2, v75, -v3
	v_add_f32_e32 v2, v1, v22
	v_fma_f32 v19, v10, v73, -v11
	v_dual_add_f32 v3, v12, v13 :: v_dual_add_f32 v10, v69, v12
	v_sub_f32_e32 v11, v21, v22
	s_waitcnt lgkmcnt(0)
	s_barrier
	s_delay_alu instid0(VALU_DEP_2)
	v_fma_f32 v1, -0.5, v3, v69
	v_add_f32_e32 v3, v10, v13
	v_add_f32_e32 v10, v23, v81
	v_fma_f32 v18, v8, v65, -v9
	buffer_gl0_inv
	v_dual_sub_f32 v22, v18, v19 :: v_dual_sub_f32 v9, v12, v13
	s_delay_alu instid0(VALU_DEP_1)
	v_dual_add_f32 v21, v18, v19 :: v_dual_fmamk_f32 v8, v9, 0xbf5db3d7, v0
	v_add_f32_e32 v12, v70, v23
	v_fmac_f32_e32 v0, 0x3f5db3d7, v9
	v_fma_f32 v70, -0.5, v10, v70
	v_sub_f32_e32 v16, v23, v81
	v_fmamk_f32 v9, v11, 0x3f5db3d7, v1
	v_dual_sub_f32 v13, v14, v15 :: v_dual_sub_f32 v60, v56, v57
	v_dual_add_f32 v10, v12, v81 :: v_dual_fmac_f32 v1, 0xbf5db3d7, v11
	v_dual_add_f32 v11, v14, v15 :: v_dual_add_f32 v14, v71, v14
	s_delay_alu instid0(VALU_DEP_3) | instskip(SKIP_1) | instid1(VALU_DEP_3)
	v_fmamk_f32 v12, v13, 0xbf5db3d7, v70
	v_dual_fmac_f32 v70, 0x3f5db3d7, v13 :: v_dual_add_f32 v23, v77, v18
	v_fmac_f32_e32 v71, -0.5, v11
	s_delay_alu instid0(VALU_DEP_4) | instskip(SKIP_1) | instid1(VALU_DEP_3)
	v_add_f32_e32 v11, v14, v15
	v_dual_add_f32 v14, v82, v17 :: v_dual_add_f32 v15, v76, v82
	v_fmamk_f32 v13, v16, 0x3f5db3d7, v71
	v_fmac_f32_e32 v71, 0xbf5db3d7, v16
	s_delay_alu instid0(VALU_DEP_3) | instskip(NEXT) | instid1(VALU_DEP_4)
	v_fma_f32 v14, -0.5, v14, v76
	v_add_f32_e32 v16, v15, v17
	v_fma_f32 v15, -0.5, v21, v77
	v_sub_f32_e32 v21, v82, v17
	s_delay_alu instid0(VALU_DEP_4) | instskip(SKIP_1) | instid1(VALU_DEP_3)
	v_dual_add_f32 v17, v23, v19 :: v_dual_fmamk_f32 v18, v22, 0xbf5db3d7, v14
	v_fmac_f32_e32 v14, 0x3f5db3d7, v22
	v_dual_add_f32 v22, v56, v57 :: v_dual_fmamk_f32 v19, v21, 0x3f5db3d7, v15
	v_fmac_f32_e32 v15, 0xbf5db3d7, v21
	v_add_f32_e32 v21, v58, v59
	v_add_f32_e32 v23, v78, v56
	s_delay_alu instid0(VALU_DEP_4) | instskip(SKIP_1) | instid1(VALU_DEP_4)
	v_fma_f32 v78, -0.5, v22, v78
	v_sub_f32_e32 v22, v58, v59
	v_dual_add_f32 v58, v79, v58 :: v_dual_fmac_f32 v79, -0.5, v21
	s_delay_alu instid0(VALU_DEP_2) | instskip(SKIP_1) | instid1(VALU_DEP_3)
	v_dual_add_f32 v21, v23, v57 :: v_dual_fmamk_f32 v56, v22, 0xbf5db3d7, v78
	v_fmac_f32_e32 v78, 0x3f5db3d7, v22
	v_dual_add_f32 v22, v58, v59 :: v_dual_fmamk_f32 v57, v60, 0x3f5db3d7, v79
	v_fmac_f32_e32 v79, 0xbf5db3d7, v60
	ds_store_2addr_b64 v103, v[2:3], v[8:9] offset1:17
	ds_store_b64 v103, v[0:1] offset:272
	ds_store_2addr_b64 v105, v[10:11], v[12:13] offset1:17
	ds_store_b64 v105, v[70:71] offset:272
	;; [unrolled: 2-line block ×4, first 2 shown]
	s_waitcnt lgkmcnt(0)
	s_barrier
	buffer_gl0_inv
	ds_load_2addr_b64 v[0:3], v5 offset0:100 offset1:253
	ds_load_2addr_b64 v[8:11], v4 offset0:72 offset1:225
	;; [unrolled: 1-line block ×4, first 2 shown]
	ds_load_2addr_b64 v[56:59], v99 offset1:153
	ds_load_2addr_b64 v[60:63], v20 offset0:50 offset1:203
	s_waitcnt lgkmcnt(0)
	s_barrier
	buffer_gl0_inv
	v_dual_mul_f32 v22, v37, v0 :: v_dual_mul_f32 v23, v39, v9
	s_delay_alu instid0(VALU_DEP_1) | instskip(SKIP_1) | instid1(VALU_DEP_3)
	v_fmac_f32_e32 v23, v38, v8
	v_mul_f32_e32 v21, v37, v1
	v_fma_f32 v1, v36, v1, -v22
	s_delay_alu instid0(VALU_DEP_2) | instskip(SKIP_2) | instid1(VALU_DEP_3)
	v_dual_mul_f32 v22, v33, v3 :: v_dual_fmac_f32 v21, v36, v0
	v_mul_f32_e32 v0, v39, v8
	v_dual_mul_f32 v8, v33, v2 :: v_dual_mul_f32 v33, v35, v11
	v_fmac_f32_e32 v22, v32, v2
	v_mul_f32_e32 v2, v29, v12
	s_delay_alu instid0(VALU_DEP_4) | instskip(SKIP_2) | instid1(VALU_DEP_3)
	v_fma_f32 v9, v38, v9, -v0
	v_mul_f32_e32 v0, v35, v10
	v_fma_f32 v32, v32, v3, -v8
	v_dual_fmac_f32 v33, v34, v10 :: v_dual_sub_f32 v10, v1, v9
	s_delay_alu instid0(VALU_DEP_3) | instskip(SKIP_3) | instid1(VALU_DEP_3)
	v_fma_f32 v11, v34, v11, -v0
	v_mul_f32_e32 v35, v29, v13
	v_mul_f32_e32 v29, v31, v17
	;; [unrolled: 1-line block ×3, first 2 shown]
	v_dual_add_f32 v8, v1, v9 :: v_dual_fmac_f32 v35, v28, v12
	v_fma_f32 v28, v28, v13, -v2
	v_mul_f32_e32 v31, v25, v15
	v_mul_f32_e32 v2, v25, v14
	v_fma_f32 v17, v30, v17, -v0
	v_mul_f32_e32 v0, v27, v18
	s_delay_alu instid0(VALU_DEP_4) | instskip(NEXT) | instid1(VALU_DEP_4)
	v_dual_sub_f32 v12, v21, v23 :: v_dual_fmac_f32 v31, v24, v14
	v_fma_f32 v24, v24, v15, -v2
	v_dual_add_f32 v2, v21, v23 :: v_dual_add_f32 v13, v58, v22
	v_mul_f32_e32 v25, v27, v19
	v_dual_sub_f32 v14, v32, v11 :: v_dual_sub_f32 v15, v22, v33
	s_delay_alu instid0(VALU_DEP_2)
	v_fmac_f32_e32 v25, v26, v18
	v_fma_f32 v26, v26, v19, -v0
	v_fma_f32 v0, -0.5, v2, v56
	v_sub_f32_e32 v19, v28, v17
	v_add_f32_e32 v3, v56, v21
	v_add_f32_e32 v21, v61, v28
	s_delay_alu instid0(VALU_DEP_2)
	v_dual_sub_f32 v27, v24, v26 :: v_dual_add_f32 v2, v3, v23
	v_add_f32_e32 v3, v57, v1
	v_fma_f32 v1, -0.5, v8, v57
	v_fmamk_f32 v8, v10, 0xbf5db3d7, v0
	v_fmac_f32_e32 v0, 0x3f5db3d7, v10
	v_add_f32_e32 v10, v22, v33
	v_add_f32_e32 v3, v3, v9
	v_fmamk_f32 v9, v12, 0x3f5db3d7, v1
	v_dual_fmac_f32 v1, 0xbf5db3d7, v12 :: v_dual_add_f32 v12, v32, v11
	s_delay_alu instid0(VALU_DEP_4) | instskip(SKIP_1) | instid1(VALU_DEP_2)
	v_fma_f32 v58, -0.5, v10, v58
	v_dual_add_f32 v10, v13, v33 :: v_dual_add_f32 v13, v59, v32
	v_dual_fmac_f32 v59, -0.5, v12 :: v_dual_fmamk_f32 v12, v14, 0xbf5db3d7, v58
	v_dual_fmac_f32 v58, 0x3f5db3d7, v14 :: v_dual_fmac_f32 v29, v30, v16
	v_add_f32_e32 v16, v60, v35
	s_delay_alu instid0(VALU_DEP_4) | instskip(NEXT) | instid1(VALU_DEP_4)
	v_add_f32_e32 v11, v13, v11
	v_fmamk_f32 v13, v15, 0x3f5db3d7, v59
	s_delay_alu instid0(VALU_DEP_4)
	v_dual_fmac_f32 v59, 0xbf5db3d7, v15 :: v_dual_add_f32 v14, v35, v29
	v_add_f32_e32 v15, v28, v17
	v_sub_f32_e32 v22, v35, v29
	v_add_f32_e32 v16, v16, v29
	v_add_f32_e32 v17, v21, v17
	v_fma_f32 v14, -0.5, v14, v60
	v_fma_f32 v15, -0.5, v15, v61
	v_add_f32_e32 v21, v31, v25
	v_dual_add_f32 v23, v62, v31 :: v_dual_sub_f32 v28, v31, v25
	s_delay_alu instid0(VALU_DEP_4) | instskip(NEXT) | instid1(VALU_DEP_4)
	v_fmamk_f32 v18, v19, 0xbf5db3d7, v14
	v_dual_fmac_f32 v14, 0x3f5db3d7, v19 :: v_dual_fmamk_f32 v19, v22, 0x3f5db3d7, v15
	v_fmac_f32_e32 v15, 0xbf5db3d7, v22
	v_add_f32_e32 v22, v24, v26
	v_fma_f32 v62, -0.5, v21, v62
	v_add_f32_e32 v24, v63, v24
	v_add_f32_e32 v21, v23, v25
	s_delay_alu instid0(VALU_DEP_4) | instskip(NEXT) | instid1(VALU_DEP_3)
	v_fmac_f32_e32 v63, -0.5, v22
	v_dual_fmamk_f32 v23, v27, 0xbf5db3d7, v62 :: v_dual_add_f32 v22, v24, v26
	v_fmac_f32_e32 v62, 0x3f5db3d7, v27
	s_delay_alu instid0(VALU_DEP_3)
	v_fmamk_f32 v24, v28, 0x3f5db3d7, v63
	v_fmac_f32_e32 v63, 0xbf5db3d7, v28
	ds_store_2addr_b64 v110, v[2:3], v[8:9] offset1:51
	ds_store_b64 v110, v[0:1] offset:816
	ds_store_2addr_b64 v112, v[10:11], v[12:13] offset1:51
	ds_store_b64 v112, v[58:59] offset:816
	;; [unrolled: 2-line block ×4, first 2 shown]
	s_waitcnt lgkmcnt(0)
	s_barrier
	buffer_gl0_inv
	ds_load_2addr_b64 v[0:3], v7 offset0:22 offset1:175
	ds_load_2addr_b64 v[8:11], v4 offset0:72 offset1:225
	;; [unrolled: 1-line block ×3, first 2 shown]
	ds_load_2addr_b64 v[16:19], v99 offset1:153
	ds_load_2addr_b64 v[21:24], v20 offset0:50 offset1:203
	ds_load_2addr_b64 v[25:28], v5 offset0:100 offset1:253
	s_waitcnt lgkmcnt(0)
	s_barrier
	buffer_gl0_inv
	v_mul_f32_e32 v29, v92, v1
	v_mul_f32_e32 v30, v92, v0
	;; [unrolled: 1-line block ×3, first 2 shown]
	v_dual_mul_f32 v32, v92, v2 :: v_dual_mul_f32 v33, v90, v11
	s_delay_alu instid0(VALU_DEP_4) | instskip(NEXT) | instid1(VALU_DEP_4)
	v_fmac_f32_e32 v29, v91, v0
	v_fma_f32 v1, v91, v1, -v30
	s_delay_alu instid0(VALU_DEP_4)
	v_dual_fmac_f32 v31, v91, v2 :: v_dual_mul_f32 v30, v88, v9
	v_mul_f32_e32 v0, v88, v8
	v_mul_f32_e32 v2, v90, v10
	;; [unrolled: 1-line block ×3, first 2 shown]
	v_fma_f32 v32, v91, v3, -v32
	v_fmac_f32_e32 v30, v87, v8
	v_fma_f32 v35, v87, v9, -v0
	v_fma_f32 v36, v89, v11, -v2
	v_dual_mul_f32 v2, v86, v12 :: v_dual_mul_f32 v37, v84, v15
	v_mul_f32_e32 v3, v84, v14
	v_sub_f32_e32 v0, v16, v29
	v_sub_f32_e32 v1, v17, v1
	v_fmac_f32_e32 v33, v89, v10
	v_fmac_f32_e32 v34, v85, v12
	v_fma_f32 v29, v85, v13, -v2
	v_dual_sub_f32 v10, v21, v30 :: v_dual_sub_f32 v11, v22, v35
	v_fmac_f32_e32 v37, v83, v14
	v_fma_f32 v38, v83, v15, -v3
	v_dual_sub_f32 v8, v18, v31 :: v_dual_sub_f32 v9, v19, v32
	v_fma_f32 v2, v16, 2.0, -v0
	v_fma_f32 v3, v17, 2.0, -v1
	v_dual_sub_f32 v14, v23, v33 :: v_dual_sub_f32 v15, v24, v36
	v_fma_f32 v16, v21, 2.0, -v10
	v_fma_f32 v17, v22, 2.0, -v11
	v_dual_sub_f32 v21, v25, v34 :: v_dual_sub_f32 v22, v26, v29
	v_dual_sub_f32 v29, v27, v37 :: v_dual_sub_f32 v30, v28, v38
	v_fma_f32 v12, v18, 2.0, -v8
	v_fma_f32 v13, v19, 2.0, -v9
	ds_store_2addr_b64 v99, v[2:3], v[0:1] offset1:153
	v_add_nc_u32_e32 v0, 0x1000, v104
	v_fma_f32 v18, v23, 2.0, -v14
	v_fma_f32 v19, v24, 2.0, -v15
	v_add_nc_u32_e32 v1, 0x1c00, v108
	v_fma_f32 v23, v25, 2.0, -v21
	v_fma_f32 v24, v26, 2.0, -v22
	;; [unrolled: 3-line block ×3, first 2 shown]
	v_add_nc_u32_e32 v3, 0x2e00, v106
	ds_store_2addr_b64 v20, v[12:13], v[8:9] offset0:50 offset1:203
	ds_store_2addr_b64 v0, v[16:17], v[10:11] offset0:100 offset1:253
	;; [unrolled: 1-line block ×5, first 2 shown]
	s_waitcnt lgkmcnt(0)
	s_barrier
	buffer_gl0_inv
	ds_load_2addr_b64 v[0:3], v20 offset0:50 offset1:203
	ds_load_2addr_b64 v[8:11], v5 offset0:100 offset1:253
	;; [unrolled: 1-line block ×5, first 2 shown]
	ds_load_2addr_b64 v[25:28], v99 offset1:153
	s_waitcnt lgkmcnt(5)
	v_mul_f32_e32 v30, v49, v0
	v_mul_f32_e32 v29, v49, v1
	s_waitcnt lgkmcnt(3)
	v_mul_f32_e32 v32, v45, v15
	s_waitcnt lgkmcnt(2)
	;; [unrolled: 2-line block ×3, first 2 shown]
	v_dual_mul_f32 v36, v94, v24 :: v_dual_mul_f32 v31, v51, v9
	v_fma_f32 v1, v48, v1, -v30
	v_mul_f32_e32 v30, v41, v13
	v_fmac_f32_e32 v34, v46, v18
	s_delay_alu instid0(VALU_DEP_4) | instskip(SKIP_1) | instid1(VALU_DEP_4)
	v_fmac_f32_e32 v36, v93, v23
	v_fmac_f32_e32 v32, v44, v14
	;; [unrolled: 1-line block ×5, first 2 shown]
	v_mul_f32_e32 v0, v51, v8
	v_mul_f32_e32 v8, v41, v12
	;; [unrolled: 1-line block ×3, first 2 shown]
	s_delay_alu instid0(VALU_DEP_3) | instskip(SKIP_1) | instid1(VALU_DEP_4)
	v_fma_f32 v0, v50, v9, -v0
	v_mul_f32_e32 v9, v43, v17
	v_fma_f32 v8, v40, v13, -v8
	s_delay_alu instid0(VALU_DEP_4) | instskip(SKIP_1) | instid1(VALU_DEP_4)
	v_fma_f32 v12, v42, v17, -v12
	v_mul_f32_e32 v17, v53, v3
	v_fmac_f32_e32 v9, v42, v16
	v_mul_f32_e32 v13, v96, v22
	v_mul_f32_e32 v16, v96, v21
	s_delay_alu instid0(VALU_DEP_1) | instskip(NEXT) | instid1(VALU_DEP_3)
	v_fma_f32 v16, v95, v22, -v16
	v_fmac_f32_e32 v13, v95, v21
	v_mul_f32_e32 v21, v53, v2
	v_fmac_f32_e32 v17, v52, v2
	v_mul_f32_e32 v2, v55, v10
	v_mul_f32_e32 v22, v55, v11
	s_delay_alu instid0(VALU_DEP_4) | instskip(SKIP_1) | instid1(VALU_DEP_4)
	v_fma_f32 v21, v52, v3, -v21
	v_mul_f32_e32 v3, v45, v14
	v_fma_f32 v33, v54, v11, -v2
	v_mul_f32_e32 v2, v47, v18
	v_fmac_f32_e32 v22, v54, v10
	s_waitcnt lgkmcnt(0)
	v_add_f32_e32 v10, v25, v31
	v_fma_f32 v35, v44, v15, -v3
	v_mul_f32_e32 v3, v94, v23
	v_fma_f32 v18, v46, v19, -v2
	v_add_f32_e32 v2, v31, v9
	s_delay_alu instid0(VALU_DEP_3) | instskip(SKIP_1) | instid1(VALU_DEP_3)
	v_fma_f32 v19, v93, v24, -v3
	v_add_f32_e32 v3, v0, v12
	v_fma_f32 v11, -0.5, v2, v25
	v_sub_f32_e32 v2, v0, v12
	v_add_f32_e32 v0, v26, v0
	s_delay_alu instid0(VALU_DEP_4) | instskip(NEXT) | instid1(VALU_DEP_3)
	v_fma_f32 v15, -0.5, v3, v26
	v_fmamk_f32 v14, v2, 0xbf5db3d7, v11
	v_dual_fmac_f32 v11, 0x3f5db3d7, v2 :: v_dual_add_f32 v2, v8, v16
	s_delay_alu instid0(VALU_DEP_4) | instskip(NEXT) | instid1(VALU_DEP_1)
	v_dual_add_f32 v23, v0, v12 :: v_dual_add_f32 v0, v30, v13
	v_dual_add_f32 v12, v29, v30 :: v_dual_fmac_f32 v29, -0.5, v0
	v_sub_f32_e32 v0, v8, v16
	s_delay_alu instid0(VALU_DEP_2) | instskip(SKIP_4) | instid1(VALU_DEP_3)
	v_add_f32_e32 v12, v12, v13
	v_add_f32_e32 v10, v10, v9
	v_sub_f32_e32 v3, v31, v9
	v_add_f32_e32 v9, v1, v8
	v_dual_fmac_f32 v1, -0.5, v2 :: v_dual_sub_f32 v2, v30, v13
	v_fmamk_f32 v24, v3, 0x3f5db3d7, v15
	v_fmac_f32_e32 v15, 0xbf5db3d7, v3
	s_delay_alu instid0(VALU_DEP_3) | instskip(SKIP_2) | instid1(VALU_DEP_3)
	v_fmamk_f32 v3, v2, 0x3f5db3d7, v1
	v_fmac_f32_e32 v1, 0xbf5db3d7, v2
	v_fmamk_f32 v2, v0, 0xbf5db3d7, v29
	v_mul_f32_e32 v26, 0.5, v3
	s_delay_alu instid0(VALU_DEP_1) | instskip(SKIP_1) | instid1(VALU_DEP_2)
	v_fmac_f32_e32 v26, 0x3f5db3d7, v2
	v_dual_add_f32 v16, v9, v16 :: v_dual_mul_f32 v13, 0xbf5db3d7, v3
	v_add_f32_e32 v3, v24, v26
	s_delay_alu instid0(VALU_DEP_2) | instskip(NEXT) | instid1(VALU_DEP_1)
	v_fmac_f32_e32 v13, 0.5, v2
	v_dual_add_f32 v2, v14, v13 :: v_dual_fmac_f32 v29, 0x3f5db3d7, v0
	v_add_f32_e32 v0, v10, v12
	v_sub_f32_e32 v10, v10, v12
	v_sub_f32_e32 v12, v14, v13
	v_mul_f32_e32 v25, 0xbf5db3d7, v1
	v_dual_mul_f32 v30, -0.5, v1 :: v_dual_add_f32 v1, v23, v16
	v_sub_f32_e32 v13, v24, v26
	s_delay_alu instid0(VALU_DEP_3) | instskip(NEXT) | instid1(VALU_DEP_3)
	v_dual_add_f32 v24, v33, v18 :: v_dual_fmac_f32 v25, -0.5, v29
	v_fmac_f32_e32 v30, 0x3f5db3d7, v29
	s_delay_alu instid0(VALU_DEP_2)
	v_add_f32_e32 v8, v11, v25
	v_sub_f32_e32 v14, v11, v25
	v_dual_sub_f32 v11, v23, v16 :: v_dual_add_f32 v16, v22, v34
	v_dual_add_f32 v25, v28, v33 :: v_dual_fmac_f32 v28, -0.5, v24
	v_add_f32_e32 v23, v27, v22
	v_sub_f32_e32 v22, v22, v34
	s_delay_alu instid0(VALU_DEP_4) | instskip(SKIP_4) | instid1(VALU_DEP_4)
	v_fma_f32 v26, -0.5, v16, v27
	v_sub_f32_e32 v16, v33, v18
	v_add_f32_e32 v9, v15, v30
	v_sub_f32_e32 v15, v15, v30
	v_dual_add_f32 v29, v25, v18 :: v_dual_fmamk_f32 v30, v22, 0x3f5db3d7, v28
	v_fmamk_f32 v24, v16, 0xbf5db3d7, v26
	v_fmac_f32_e32 v26, 0x3f5db3d7, v16
	v_add_f32_e32 v16, v35, v19
	v_dual_add_f32 v23, v23, v34 :: v_dual_add_f32 v18, v32, v36
	v_dual_add_f32 v25, v21, v35 :: v_dual_fmac_f32 v28, 0xbf5db3d7, v22
	s_delay_alu instid0(VALU_DEP_3) | instskip(SKIP_2) | instid1(VALU_DEP_4)
	v_fmac_f32_e32 v21, -0.5, v16
	v_sub_f32_e32 v16, v32, v36
	v_add_f32_e32 v27, v17, v32
	v_dual_fmac_f32 v17, -0.5, v18 :: v_dual_add_f32 v34, v25, v19
	v_sub_f32_e32 v18, v35, v19
	s_delay_alu instid0(VALU_DEP_4) | instskip(NEXT) | instid1(VALU_DEP_1)
	v_fmamk_f32 v22, v16, 0x3f5db3d7, v21
	v_dual_fmamk_f32 v31, v18, 0xbf5db3d7, v17 :: v_dual_mul_f32 v32, 0xbf5db3d7, v22
	s_delay_alu instid0(VALU_DEP_1) | instskip(NEXT) | instid1(VALU_DEP_1)
	v_dual_fmac_f32 v21, 0xbf5db3d7, v16 :: v_dual_fmac_f32 v32, 0.5, v31
	v_dual_fmac_f32 v17, 0x3f5db3d7, v18 :: v_dual_add_f32 v18, v24, v32
	s_delay_alu instid0(VALU_DEP_2) | instskip(SKIP_1) | instid1(VALU_DEP_2)
	v_dual_add_f32 v27, v27, v36 :: v_dual_mul_f32 v36, -0.5, v21
	v_dual_sub_f32 v25, v24, v32 :: v_dual_sub_f32 v24, v29, v34
	v_dual_fmac_f32 v36, 0x3f5db3d7, v17 :: v_dual_mul_f32 v35, 0.5, v22
	s_delay_alu instid0(VALU_DEP_3) | instskip(NEXT) | instid1(VALU_DEP_2)
	v_dual_mul_f32 v33, 0xbf5db3d7, v21 :: v_dual_add_f32 v16, v23, v27
	v_dual_sub_f32 v23, v23, v27 :: v_dual_add_f32 v22, v28, v36
	s_delay_alu instid0(VALU_DEP_3) | instskip(NEXT) | instid1(VALU_DEP_3)
	v_dual_sub_f32 v28, v28, v36 :: v_dual_fmac_f32 v35, 0x3f5db3d7, v31
	v_fmac_f32_e32 v33, -0.5, v17
	v_add_f32_e32 v17, v29, v34
	s_delay_alu instid0(VALU_DEP_3) | instskip(NEXT) | instid1(VALU_DEP_3)
	v_add_f32_e32 v19, v30, v35
	v_add_f32_e32 v21, v26, v33
	v_sub_f32_e32 v27, v26, v33
	v_sub_f32_e32 v26, v30, v35
	ds_store_2addr_b64 v99, v[0:1], v[16:17] offset1:153
	ds_store_2addr_b64 v20, v[2:3], v[18:19] offset0:50 offset1:203
	ds_store_2addr_b64 v5, v[8:9], v[21:22] offset0:100 offset1:253
	;; [unrolled: 1-line block ×5, first 2 shown]
	s_waitcnt lgkmcnt(0)
	s_barrier
	buffer_gl0_inv
	s_and_b32 exec_lo, exec_lo, vcc_lo
	s_cbranch_execz .LBB0_15
; %bb.14:
	global_load_b64 v[0:1], v97, s[12:13]
	ds_load_b64 v[2:3], v99
	v_mad_u64_u32 v[6:7], null, s4, v98, 0
	s_mov_b32 s0, 0x672e4abd
	s_mov_b32 s1, 0x3f41d8f5
	s_mul_i32 s2, s5, 0x360
	s_mul_i32 s3, s4, 0x360
	s_waitcnt vmcnt(0) lgkmcnt(0)
	v_mul_f32_e32 v4, v3, v1
	v_mul_f32_e32 v1, v2, v1
	s_delay_alu instid0(VALU_DEP_2) | instskip(NEXT) | instid1(VALU_DEP_2)
	v_fmac_f32_e32 v4, v2, v0
	v_fma_f32 v2, v0, v3, -v1
	s_delay_alu instid0(VALU_DEP_2) | instskip(NEXT) | instid1(VALU_DEP_2)
	v_cvt_f64_f32_e32 v[0:1], v4
	v_cvt_f64_f32_e32 v[2:3], v2
	v_mad_u64_u32 v[4:5], null, s6, v80, 0
	s_delay_alu instid0(VALU_DEP_3) | instskip(NEXT) | instid1(VALU_DEP_3)
	v_mul_f64 v[0:1], v[0:1], s[0:1]
	v_mul_f64 v[2:3], v[2:3], s[0:1]
	s_delay_alu instid0(VALU_DEP_2) | instskip(NEXT) | instid1(VALU_DEP_2)
	v_cvt_f32_f64_e32 v0, v[0:1]
	v_cvt_f32_f64_e32 v1, v[2:3]
	v_dual_mov_b32 v3, v7 :: v_dual_mov_b32 v2, v5
	s_delay_alu instid0(VALU_DEP_1) | instskip(SKIP_4) | instid1(VALU_DEP_3)
	v_mad_u64_u32 v[7:8], null, s7, v80, v[2:3]
	v_mad_u64_u32 v[8:9], null, s5, v98, v[3:4]
	s_mul_hi_u32 s5, s4, 0x360
	v_add_co_u32 v10, s4, s12, v97
	s_add_i32 s2, s5, s2
	v_mov_b32_e32 v5, v7
	v_add_co_ci_u32_e64 v11, null, s13, 0, s4
	s_delay_alu instid0(VALU_DEP_4) | instskip(NEXT) | instid1(VALU_DEP_3)
	v_mov_b32_e32 v7, v8
	v_lshlrev_b64 v[2:3], 3, v[4:5]
	s_delay_alu instid0(VALU_DEP_2) | instskip(NEXT) | instid1(VALU_DEP_2)
	v_lshlrev_b64 v[4:5], 3, v[6:7]
	v_add_co_u32 v2, vcc_lo, s14, v2
	s_delay_alu instid0(VALU_DEP_3) | instskip(NEXT) | instid1(VALU_DEP_2)
	v_add_co_ci_u32_e32 v3, vcc_lo, s15, v3, vcc_lo
	v_add_co_u32 v4, vcc_lo, v2, v4
	s_delay_alu instid0(VALU_DEP_2)
	v_add_co_ci_u32_e32 v5, vcc_lo, v3, v5, vcc_lo
	global_store_b64 v[4:5], v[0:1], off
	global_load_b64 v[6:7], v97, s[12:13] offset:864
	ds_load_2addr_b64 v[0:3], v100 offset0:108 offset1:216
	v_add_co_u32 v4, vcc_lo, v4, s3
	v_add_co_ci_u32_e32 v5, vcc_lo, s2, v5, vcc_lo
	s_waitcnt vmcnt(0) lgkmcnt(0)
	v_mul_f32_e32 v8, v1, v7
	v_mul_f32_e32 v7, v0, v7
	s_delay_alu instid0(VALU_DEP_2) | instskip(NEXT) | instid1(VALU_DEP_2)
	v_fmac_f32_e32 v8, v0, v6
	v_fma_f32 v6, v6, v1, -v7
	s_delay_alu instid0(VALU_DEP_2) | instskip(NEXT) | instid1(VALU_DEP_2)
	v_cvt_f64_f32_e32 v[0:1], v8
	v_cvt_f64_f32_e32 v[6:7], v6
	s_delay_alu instid0(VALU_DEP_2) | instskip(NEXT) | instid1(VALU_DEP_2)
	v_mul_f64 v[0:1], v[0:1], s[0:1]
	v_mul_f64 v[6:7], v[6:7], s[0:1]
	s_delay_alu instid0(VALU_DEP_2) | instskip(NEXT) | instid1(VALU_DEP_2)
	v_cvt_f32_f64_e32 v0, v[0:1]
	v_cvt_f32_f64_e32 v1, v[6:7]
	global_store_b64 v[4:5], v[0:1], off
	global_load_b64 v[0:1], v97, s[12:13] offset:1728
	v_add_co_u32 v4, vcc_lo, v4, s3
	v_add_co_ci_u32_e32 v5, vcc_lo, s2, v5, vcc_lo
	s_waitcnt vmcnt(0)
	v_mul_f32_e32 v6, v3, v1
	v_mul_f32_e32 v1, v2, v1
	s_delay_alu instid0(VALU_DEP_2) | instskip(NEXT) | instid1(VALU_DEP_2)
	v_fmac_f32_e32 v6, v2, v0
	v_fma_f32 v2, v0, v3, -v1
	s_delay_alu instid0(VALU_DEP_2) | instskip(NEXT) | instid1(VALU_DEP_2)
	v_cvt_f64_f32_e32 v[0:1], v6
	v_cvt_f64_f32_e32 v[2:3], v2
	s_delay_alu instid0(VALU_DEP_2) | instskip(NEXT) | instid1(VALU_DEP_2)
	v_mul_f64 v[0:1], v[0:1], s[0:1]
	v_mul_f64 v[2:3], v[2:3], s[0:1]
	s_delay_alu instid0(VALU_DEP_2) | instskip(NEXT) | instid1(VALU_DEP_2)
	v_cvt_f32_f64_e32 v0, v[0:1]
	v_cvt_f32_f64_e32 v1, v[2:3]
	global_store_b64 v[4:5], v[0:1], off
	global_load_b64 v[6:7], v97, s[12:13] offset:2592
	v_add_nc_u32_e32 v0, 0x800, v100
	v_add_co_u32 v4, vcc_lo, v4, s3
	v_add_co_ci_u32_e32 v5, vcc_lo, s2, v5, vcc_lo
	ds_load_2addr_b64 v[0:3], v0 offset0:68 offset1:176
	s_waitcnt vmcnt(0) lgkmcnt(0)
	v_mul_f32_e32 v8, v1, v7
	v_mul_f32_e32 v7, v0, v7
	s_delay_alu instid0(VALU_DEP_2) | instskip(NEXT) | instid1(VALU_DEP_2)
	v_fmac_f32_e32 v8, v0, v6
	v_fma_f32 v6, v6, v1, -v7
	s_delay_alu instid0(VALU_DEP_2) | instskip(NEXT) | instid1(VALU_DEP_2)
	v_cvt_f64_f32_e32 v[0:1], v8
	v_cvt_f64_f32_e32 v[6:7], v6
	s_delay_alu instid0(VALU_DEP_2) | instskip(NEXT) | instid1(VALU_DEP_2)
	v_mul_f64 v[0:1], v[0:1], s[0:1]
	v_mul_f64 v[6:7], v[6:7], s[0:1]
	s_delay_alu instid0(VALU_DEP_2) | instskip(NEXT) | instid1(VALU_DEP_2)
	v_cvt_f32_f64_e32 v0, v[0:1]
	v_cvt_f32_f64_e32 v1, v[6:7]
	global_store_b64 v[4:5], v[0:1], off
	global_load_b64 v[0:1], v97, s[12:13] offset:3456
	v_add_co_u32 v4, vcc_lo, v4, s3
	v_add_co_ci_u32_e32 v5, vcc_lo, s2, v5, vcc_lo
	s_waitcnt vmcnt(0)
	v_mul_f32_e32 v6, v3, v1
	v_mul_f32_e32 v1, v2, v1
	s_delay_alu instid0(VALU_DEP_2) | instskip(NEXT) | instid1(VALU_DEP_2)
	v_fmac_f32_e32 v6, v2, v0
	v_fma_f32 v2, v0, v3, -v1
	s_delay_alu instid0(VALU_DEP_2) | instskip(NEXT) | instid1(VALU_DEP_2)
	v_cvt_f64_f32_e32 v[0:1], v6
	v_cvt_f64_f32_e32 v[2:3], v2
	v_add_co_u32 v6, vcc_lo, 0x1000, v10
	v_add_co_ci_u32_e32 v7, vcc_lo, 0, v11, vcc_lo
	s_delay_alu instid0(VALU_DEP_4) | instskip(NEXT) | instid1(VALU_DEP_4)
	v_mul_f64 v[0:1], v[0:1], s[0:1]
	v_mul_f64 v[2:3], v[2:3], s[0:1]
	s_delay_alu instid0(VALU_DEP_2) | instskip(NEXT) | instid1(VALU_DEP_2)
	v_cvt_f32_f64_e32 v0, v[0:1]
	v_cvt_f32_f64_e32 v1, v[2:3]
	global_store_b64 v[4:5], v[0:1], off
	global_load_b64 v[8:9], v[6:7], off offset:224
	v_add_nc_u32_e32 v0, 0x1000, v100
	v_add_co_u32 v4, vcc_lo, v4, s3
	v_add_co_ci_u32_e32 v5, vcc_lo, s2, v5, vcc_lo
	ds_load_2addr_b64 v[0:3], v0 offset0:28 offset1:136
	s_waitcnt vmcnt(0) lgkmcnt(0)
	v_mul_f32_e32 v12, v1, v9
	v_mul_f32_e32 v9, v0, v9
	s_delay_alu instid0(VALU_DEP_2) | instskip(NEXT) | instid1(VALU_DEP_2)
	v_fmac_f32_e32 v12, v0, v8
	v_fma_f32 v8, v8, v1, -v9
	s_delay_alu instid0(VALU_DEP_2) | instskip(NEXT) | instid1(VALU_DEP_2)
	v_cvt_f64_f32_e32 v[0:1], v12
	v_cvt_f64_f32_e32 v[8:9], v8
	s_delay_alu instid0(VALU_DEP_2) | instskip(NEXT) | instid1(VALU_DEP_2)
	v_mul_f64 v[0:1], v[0:1], s[0:1]
	v_mul_f64 v[8:9], v[8:9], s[0:1]
	s_delay_alu instid0(VALU_DEP_2) | instskip(NEXT) | instid1(VALU_DEP_2)
	v_cvt_f32_f64_e32 v0, v[0:1]
	v_cvt_f32_f64_e32 v1, v[8:9]
	global_store_b64 v[4:5], v[0:1], off
	global_load_b64 v[0:1], v[6:7], off offset:1088
	v_add_co_u32 v4, vcc_lo, v4, s3
	v_add_co_ci_u32_e32 v5, vcc_lo, s2, v5, vcc_lo
	s_waitcnt vmcnt(0)
	v_mul_f32_e32 v8, v3, v1
	v_mul_f32_e32 v1, v2, v1
	s_delay_alu instid0(VALU_DEP_2) | instskip(NEXT) | instid1(VALU_DEP_2)
	v_fmac_f32_e32 v8, v2, v0
	v_fma_f32 v2, v0, v3, -v1
	s_delay_alu instid0(VALU_DEP_2) | instskip(NEXT) | instid1(VALU_DEP_2)
	v_cvt_f64_f32_e32 v[0:1], v8
	v_cvt_f64_f32_e32 v[2:3], v2
	s_delay_alu instid0(VALU_DEP_2) | instskip(NEXT) | instid1(VALU_DEP_2)
	v_mul_f64 v[0:1], v[0:1], s[0:1]
	v_mul_f64 v[2:3], v[2:3], s[0:1]
	s_delay_alu instid0(VALU_DEP_2) | instskip(NEXT) | instid1(VALU_DEP_2)
	v_cvt_f32_f64_e32 v0, v[0:1]
	v_cvt_f32_f64_e32 v1, v[2:3]
	global_store_b64 v[4:5], v[0:1], off
	global_load_b64 v[8:9], v[6:7], off offset:1952
	v_add_nc_u32_e32 v0, 0x1400, v100
	v_add_co_u32 v4, vcc_lo, v4, s3
	v_add_co_ci_u32_e32 v5, vcc_lo, s2, v5, vcc_lo
	ds_load_2addr_b64 v[0:3], v0 offset0:116 offset1:224
	s_waitcnt vmcnt(0) lgkmcnt(0)
	v_mul_f32_e32 v12, v1, v9
	v_mul_f32_e32 v9, v0, v9
	s_delay_alu instid0(VALU_DEP_2) | instskip(NEXT) | instid1(VALU_DEP_2)
	v_fmac_f32_e32 v12, v0, v8
	v_fma_f32 v8, v8, v1, -v9
	s_delay_alu instid0(VALU_DEP_2) | instskip(NEXT) | instid1(VALU_DEP_2)
	v_cvt_f64_f32_e32 v[0:1], v12
	v_cvt_f64_f32_e32 v[8:9], v8
	s_delay_alu instid0(VALU_DEP_2) | instskip(NEXT) | instid1(VALU_DEP_2)
	v_mul_f64 v[0:1], v[0:1], s[0:1]
	v_mul_f64 v[8:9], v[8:9], s[0:1]
	s_delay_alu instid0(VALU_DEP_2) | instskip(NEXT) | instid1(VALU_DEP_2)
	v_cvt_f32_f64_e32 v0, v[0:1]
	v_cvt_f32_f64_e32 v1, v[8:9]
	global_store_b64 v[4:5], v[0:1], off
	global_load_b64 v[0:1], v[6:7], off offset:2816
	v_add_co_u32 v4, vcc_lo, v4, s3
	v_add_co_ci_u32_e32 v5, vcc_lo, s2, v5, vcc_lo
	s_waitcnt vmcnt(0)
	v_mul_f32_e32 v8, v3, v1
	v_mul_f32_e32 v1, v2, v1
	s_delay_alu instid0(VALU_DEP_2) | instskip(NEXT) | instid1(VALU_DEP_2)
	v_fmac_f32_e32 v8, v2, v0
	v_fma_f32 v2, v0, v3, -v1
	s_delay_alu instid0(VALU_DEP_2) | instskip(NEXT) | instid1(VALU_DEP_2)
	v_cvt_f64_f32_e32 v[0:1], v8
	v_cvt_f64_f32_e32 v[2:3], v2
	s_delay_alu instid0(VALU_DEP_2) | instskip(NEXT) | instid1(VALU_DEP_2)
	v_mul_f64 v[0:1], v[0:1], s[0:1]
	v_mul_f64 v[2:3], v[2:3], s[0:1]
	s_delay_alu instid0(VALU_DEP_2) | instskip(NEXT) | instid1(VALU_DEP_2)
	v_cvt_f32_f64_e32 v0, v[0:1]
	v_cvt_f32_f64_e32 v1, v[2:3]
	global_store_b64 v[4:5], v[0:1], off
	global_load_b64 v[6:7], v[6:7], off offset:3680
	v_add_nc_u32_e32 v0, 0x1c00, v100
	v_add_co_u32 v4, vcc_lo, v4, s3
	v_add_co_ci_u32_e32 v5, vcc_lo, s2, v5, vcc_lo
	ds_load_2addr_b64 v[0:3], v0 offset0:76 offset1:184
	s_waitcnt vmcnt(0) lgkmcnt(0)
	v_mul_f32_e32 v8, v1, v7
	v_mul_f32_e32 v7, v0, v7
	s_delay_alu instid0(VALU_DEP_2) | instskip(NEXT) | instid1(VALU_DEP_2)
	v_fmac_f32_e32 v8, v0, v6
	v_fma_f32 v6, v6, v1, -v7
	s_delay_alu instid0(VALU_DEP_2) | instskip(NEXT) | instid1(VALU_DEP_2)
	v_cvt_f64_f32_e32 v[0:1], v8
	v_cvt_f64_f32_e32 v[6:7], v6
	s_delay_alu instid0(VALU_DEP_2) | instskip(NEXT) | instid1(VALU_DEP_2)
	v_mul_f64 v[0:1], v[0:1], s[0:1]
	v_mul_f64 v[6:7], v[6:7], s[0:1]
	s_delay_alu instid0(VALU_DEP_2) | instskip(NEXT) | instid1(VALU_DEP_2)
	v_cvt_f32_f64_e32 v0, v[0:1]
	v_cvt_f32_f64_e32 v1, v[6:7]
	v_add_co_u32 v6, vcc_lo, 0x2000, v10
	v_add_co_ci_u32_e32 v7, vcc_lo, 0, v11, vcc_lo
	global_store_b64 v[4:5], v[0:1], off
	global_load_b64 v[0:1], v[6:7], off offset:448
	v_add_co_u32 v4, vcc_lo, v4, s3
	v_add_co_ci_u32_e32 v5, vcc_lo, s2, v5, vcc_lo
	s_waitcnt vmcnt(0)
	v_mul_f32_e32 v8, v3, v1
	v_mul_f32_e32 v1, v2, v1
	s_delay_alu instid0(VALU_DEP_2) | instskip(NEXT) | instid1(VALU_DEP_2)
	v_fmac_f32_e32 v8, v2, v0
	v_fma_f32 v2, v0, v3, -v1
	s_delay_alu instid0(VALU_DEP_2) | instskip(NEXT) | instid1(VALU_DEP_2)
	v_cvt_f64_f32_e32 v[0:1], v8
	v_cvt_f64_f32_e32 v[2:3], v2
	s_delay_alu instid0(VALU_DEP_2) | instskip(NEXT) | instid1(VALU_DEP_2)
	v_mul_f64 v[0:1], v[0:1], s[0:1]
	v_mul_f64 v[2:3], v[2:3], s[0:1]
	s_delay_alu instid0(VALU_DEP_2) | instskip(NEXT) | instid1(VALU_DEP_2)
	v_cvt_f32_f64_e32 v0, v[0:1]
	v_cvt_f32_f64_e32 v1, v[2:3]
	global_store_b64 v[4:5], v[0:1], off
	global_load_b64 v[8:9], v[6:7], off offset:1312
	v_add_nc_u32_e32 v0, 0x2400, v100
	v_add_co_u32 v4, vcc_lo, v4, s3
	v_add_co_ci_u32_e32 v5, vcc_lo, s2, v5, vcc_lo
	ds_load_2addr_b64 v[0:3], v0 offset0:36 offset1:144
	s_waitcnt vmcnt(0) lgkmcnt(0)
	v_mul_f32_e32 v12, v1, v9
	v_mul_f32_e32 v9, v0, v9
	s_delay_alu instid0(VALU_DEP_2) | instskip(NEXT) | instid1(VALU_DEP_2)
	v_fmac_f32_e32 v12, v0, v8
	v_fma_f32 v8, v8, v1, -v9
	s_delay_alu instid0(VALU_DEP_2) | instskip(NEXT) | instid1(VALU_DEP_2)
	v_cvt_f64_f32_e32 v[0:1], v12
	v_cvt_f64_f32_e32 v[8:9], v8
	s_delay_alu instid0(VALU_DEP_2) | instskip(NEXT) | instid1(VALU_DEP_2)
	v_mul_f64 v[0:1], v[0:1], s[0:1]
	v_mul_f64 v[8:9], v[8:9], s[0:1]
	s_delay_alu instid0(VALU_DEP_2) | instskip(NEXT) | instid1(VALU_DEP_2)
	v_cvt_f32_f64_e32 v0, v[0:1]
	v_cvt_f32_f64_e32 v1, v[8:9]
	global_store_b64 v[4:5], v[0:1], off
	global_load_b64 v[0:1], v[6:7], off offset:2176
	v_add_co_u32 v4, vcc_lo, v4, s3
	v_add_co_ci_u32_e32 v5, vcc_lo, s2, v5, vcc_lo
	s_waitcnt vmcnt(0)
	v_mul_f32_e32 v8, v3, v1
	v_mul_f32_e32 v1, v2, v1
	s_delay_alu instid0(VALU_DEP_2) | instskip(NEXT) | instid1(VALU_DEP_2)
	v_fmac_f32_e32 v8, v2, v0
	v_fma_f32 v2, v0, v3, -v1
	s_delay_alu instid0(VALU_DEP_2) | instskip(NEXT) | instid1(VALU_DEP_2)
	v_cvt_f64_f32_e32 v[0:1], v8
	v_cvt_f64_f32_e32 v[2:3], v2
	s_delay_alu instid0(VALU_DEP_2) | instskip(NEXT) | instid1(VALU_DEP_2)
	v_mul_f64 v[0:1], v[0:1], s[0:1]
	v_mul_f64 v[2:3], v[2:3], s[0:1]
	s_delay_alu instid0(VALU_DEP_2) | instskip(NEXT) | instid1(VALU_DEP_2)
	v_cvt_f32_f64_e32 v0, v[0:1]
	v_cvt_f32_f64_e32 v1, v[2:3]
	global_store_b64 v[4:5], v[0:1], off
	global_load_b64 v[8:9], v[6:7], off offset:3040
	v_add_nc_u32_e32 v0, 0x2800, v100
	v_add_co_u32 v4, vcc_lo, v4, s3
	v_add_co_ci_u32_e32 v5, vcc_lo, s2, v5, vcc_lo
	ds_load_2addr_b64 v[0:3], v0 offset0:124 offset1:232
	s_waitcnt vmcnt(0) lgkmcnt(0)
	v_mul_f32_e32 v12, v1, v9
	v_mul_f32_e32 v9, v0, v9
	s_delay_alu instid0(VALU_DEP_2) | instskip(NEXT) | instid1(VALU_DEP_2)
	v_fmac_f32_e32 v12, v0, v8
	v_fma_f32 v8, v8, v1, -v9
	s_delay_alu instid0(VALU_DEP_2) | instskip(NEXT) | instid1(VALU_DEP_2)
	v_cvt_f64_f32_e32 v[0:1], v12
	v_cvt_f64_f32_e32 v[8:9], v8
	s_delay_alu instid0(VALU_DEP_2) | instskip(NEXT) | instid1(VALU_DEP_2)
	v_mul_f64 v[0:1], v[0:1], s[0:1]
	v_mul_f64 v[8:9], v[8:9], s[0:1]
	s_delay_alu instid0(VALU_DEP_2) | instskip(NEXT) | instid1(VALU_DEP_2)
	v_cvt_f32_f64_e32 v0, v[0:1]
	v_cvt_f32_f64_e32 v1, v[8:9]
	global_store_b64 v[4:5], v[0:1], off
	global_load_b64 v[0:1], v[6:7], off offset:3904
	v_add_co_u32 v4, vcc_lo, v4, s3
	v_add_co_ci_u32_e32 v5, vcc_lo, s2, v5, vcc_lo
	s_waitcnt vmcnt(0)
	v_mul_f32_e32 v6, v3, v1
	v_mul_f32_e32 v1, v2, v1
	s_delay_alu instid0(VALU_DEP_2) | instskip(NEXT) | instid1(VALU_DEP_2)
	v_fmac_f32_e32 v6, v2, v0
	v_fma_f32 v2, v0, v3, -v1
	s_delay_alu instid0(VALU_DEP_2) | instskip(NEXT) | instid1(VALU_DEP_2)
	v_cvt_f64_f32_e32 v[0:1], v6
	v_cvt_f64_f32_e32 v[2:3], v2
	v_add_co_u32 v6, vcc_lo, 0x3000, v10
	v_add_co_ci_u32_e32 v7, vcc_lo, 0, v11, vcc_lo
	s_delay_alu instid0(VALU_DEP_4) | instskip(NEXT) | instid1(VALU_DEP_4)
	v_mul_f64 v[0:1], v[0:1], s[0:1]
	v_mul_f64 v[2:3], v[2:3], s[0:1]
	s_delay_alu instid0(VALU_DEP_2) | instskip(NEXT) | instid1(VALU_DEP_2)
	v_cvt_f32_f64_e32 v0, v[0:1]
	v_cvt_f32_f64_e32 v1, v[2:3]
	global_store_b64 v[4:5], v[0:1], off
	global_load_b64 v[8:9], v[6:7], off offset:672
	v_add_nc_u32_e32 v0, 0x3000, v100
	v_add_co_u32 v4, vcc_lo, v4, s3
	v_add_co_ci_u32_e32 v5, vcc_lo, s2, v5, vcc_lo
	ds_load_2addr_b64 v[0:3], v0 offset0:84 offset1:192
	s_waitcnt vmcnt(0) lgkmcnt(0)
	v_mul_f32_e32 v10, v1, v9
	v_mul_f32_e32 v9, v0, v9
	s_delay_alu instid0(VALU_DEP_2) | instskip(NEXT) | instid1(VALU_DEP_2)
	v_fmac_f32_e32 v10, v0, v8
	v_fma_f32 v8, v8, v1, -v9
	s_delay_alu instid0(VALU_DEP_2) | instskip(NEXT) | instid1(VALU_DEP_2)
	v_cvt_f64_f32_e32 v[0:1], v10
	v_cvt_f64_f32_e32 v[8:9], v8
	s_delay_alu instid0(VALU_DEP_2) | instskip(NEXT) | instid1(VALU_DEP_2)
	v_mul_f64 v[0:1], v[0:1], s[0:1]
	v_mul_f64 v[8:9], v[8:9], s[0:1]
	s_delay_alu instid0(VALU_DEP_2) | instskip(NEXT) | instid1(VALU_DEP_2)
	v_cvt_f32_f64_e32 v0, v[0:1]
	v_cvt_f32_f64_e32 v1, v[8:9]
	global_store_b64 v[4:5], v[0:1], off
	global_load_b64 v[0:1], v[6:7], off offset:1536
	s_waitcnt vmcnt(0)
	v_mul_f32_e32 v6, v3, v1
	v_mul_f32_e32 v1, v2, v1
	s_delay_alu instid0(VALU_DEP_2) | instskip(NEXT) | instid1(VALU_DEP_2)
	v_fmac_f32_e32 v6, v2, v0
	v_fma_f32 v2, v0, v3, -v1
	s_delay_alu instid0(VALU_DEP_2) | instskip(NEXT) | instid1(VALU_DEP_2)
	v_cvt_f64_f32_e32 v[0:1], v6
	v_cvt_f64_f32_e32 v[2:3], v2
	s_delay_alu instid0(VALU_DEP_2) | instskip(NEXT) | instid1(VALU_DEP_2)
	v_mul_f64 v[0:1], v[0:1], s[0:1]
	v_mul_f64 v[2:3], v[2:3], s[0:1]
	s_delay_alu instid0(VALU_DEP_2) | instskip(NEXT) | instid1(VALU_DEP_2)
	v_cvt_f32_f64_e32 v0, v[0:1]
	v_cvt_f32_f64_e32 v1, v[2:3]
	v_add_co_u32 v2, vcc_lo, v4, s3
	v_add_co_ci_u32_e32 v3, vcc_lo, s2, v5, vcc_lo
	global_store_b64 v[2:3], v[0:1], off
.LBB0_15:
	s_nop 0
	s_sendmsg sendmsg(MSG_DEALLOC_VGPRS)
	s_endpgm
	.section	.rodata,"a",@progbits
	.p2align	6, 0x0
	.amdhsa_kernel bluestein_single_fwd_len1836_dim1_sp_op_CI_CI
		.amdhsa_group_segment_fixed_size 14688
		.amdhsa_private_segment_fixed_size 0
		.amdhsa_kernarg_size 104
		.amdhsa_user_sgpr_count 15
		.amdhsa_user_sgpr_dispatch_ptr 0
		.amdhsa_user_sgpr_queue_ptr 0
		.amdhsa_user_sgpr_kernarg_segment_ptr 1
		.amdhsa_user_sgpr_dispatch_id 0
		.amdhsa_user_sgpr_private_segment_size 0
		.amdhsa_wavefront_size32 1
		.amdhsa_uses_dynamic_stack 0
		.amdhsa_enable_private_segment 0
		.amdhsa_system_sgpr_workgroup_id_x 1
		.amdhsa_system_sgpr_workgroup_id_y 0
		.amdhsa_system_sgpr_workgroup_id_z 0
		.amdhsa_system_sgpr_workgroup_info 0
		.amdhsa_system_vgpr_workitem_id 0
		.amdhsa_next_free_vgpr 233
		.amdhsa_next_free_sgpr 16
		.amdhsa_reserve_vcc 1
		.amdhsa_float_round_mode_32 0
		.amdhsa_float_round_mode_16_64 0
		.amdhsa_float_denorm_mode_32 3
		.amdhsa_float_denorm_mode_16_64 3
		.amdhsa_dx10_clamp 1
		.amdhsa_ieee_mode 1
		.amdhsa_fp16_overflow 0
		.amdhsa_workgroup_processor_mode 1
		.amdhsa_memory_ordered 1
		.amdhsa_forward_progress 0
		.amdhsa_shared_vgpr_count 0
		.amdhsa_exception_fp_ieee_invalid_op 0
		.amdhsa_exception_fp_denorm_src 0
		.amdhsa_exception_fp_ieee_div_zero 0
		.amdhsa_exception_fp_ieee_overflow 0
		.amdhsa_exception_fp_ieee_underflow 0
		.amdhsa_exception_fp_ieee_inexact 0
		.amdhsa_exception_int_div_zero 0
	.end_amdhsa_kernel
	.text
.Lfunc_end0:
	.size	bluestein_single_fwd_len1836_dim1_sp_op_CI_CI, .Lfunc_end0-bluestein_single_fwd_len1836_dim1_sp_op_CI_CI
                                        ; -- End function
	.section	.AMDGPU.csdata,"",@progbits
; Kernel info:
; codeLenInByte = 22092
; NumSgprs: 18
; NumVgprs: 233
; ScratchSize: 0
; MemoryBound: 0
; FloatMode: 240
; IeeeMode: 1
; LDSByteSize: 14688 bytes/workgroup (compile time only)
; SGPRBlocks: 2
; VGPRBlocks: 29
; NumSGPRsForWavesPerEU: 18
; NumVGPRsForWavesPerEU: 233
; Occupancy: 6
; WaveLimiterHint : 1
; COMPUTE_PGM_RSRC2:SCRATCH_EN: 0
; COMPUTE_PGM_RSRC2:USER_SGPR: 15
; COMPUTE_PGM_RSRC2:TRAP_HANDLER: 0
; COMPUTE_PGM_RSRC2:TGID_X_EN: 1
; COMPUTE_PGM_RSRC2:TGID_Y_EN: 0
; COMPUTE_PGM_RSRC2:TGID_Z_EN: 0
; COMPUTE_PGM_RSRC2:TIDIG_COMP_CNT: 0
	.text
	.p2alignl 7, 3214868480
	.fill 96, 4, 3214868480
	.type	__hip_cuid_a04a192f007f10e1,@object ; @__hip_cuid_a04a192f007f10e1
	.section	.bss,"aw",@nobits
	.globl	__hip_cuid_a04a192f007f10e1
__hip_cuid_a04a192f007f10e1:
	.byte	0                               ; 0x0
	.size	__hip_cuid_a04a192f007f10e1, 1

	.ident	"AMD clang version 19.0.0git (https://github.com/RadeonOpenCompute/llvm-project roc-6.4.0 25133 c7fe45cf4b819c5991fe208aaa96edf142730f1d)"
	.section	".note.GNU-stack","",@progbits
	.addrsig
	.addrsig_sym __hip_cuid_a04a192f007f10e1
	.amdgpu_metadata
---
amdhsa.kernels:
  - .args:
      - .actual_access:  read_only
        .address_space:  global
        .offset:         0
        .size:           8
        .value_kind:     global_buffer
      - .actual_access:  read_only
        .address_space:  global
        .offset:         8
        .size:           8
        .value_kind:     global_buffer
      - .actual_access:  read_only
        .address_space:  global
        .offset:         16
        .size:           8
        .value_kind:     global_buffer
      - .actual_access:  read_only
        .address_space:  global
        .offset:         24
        .size:           8
        .value_kind:     global_buffer
      - .actual_access:  read_only
        .address_space:  global
        .offset:         32
        .size:           8
        .value_kind:     global_buffer
      - .offset:         40
        .size:           8
        .value_kind:     by_value
      - .address_space:  global
        .offset:         48
        .size:           8
        .value_kind:     global_buffer
      - .address_space:  global
        .offset:         56
        .size:           8
        .value_kind:     global_buffer
      - .address_space:  global
        .offset:         64
        .size:           8
        .value_kind:     global_buffer
      - .address_space:  global
        .offset:         72
        .size:           8
        .value_kind:     global_buffer
      - .offset:         80
        .size:           4
        .value_kind:     by_value
      - .address_space:  global
        .offset:         88
        .size:           8
        .value_kind:     global_buffer
      - .address_space:  global
        .offset:         96
        .size:           8
        .value_kind:     global_buffer
    .group_segment_fixed_size: 14688
    .kernarg_segment_align: 8
    .kernarg_segment_size: 104
    .language:       OpenCL C
    .language_version:
      - 2
      - 0
    .max_flat_workgroup_size: 153
    .name:           bluestein_single_fwd_len1836_dim1_sp_op_CI_CI
    .private_segment_fixed_size: 0
    .sgpr_count:     18
    .sgpr_spill_count: 0
    .symbol:         bluestein_single_fwd_len1836_dim1_sp_op_CI_CI.kd
    .uniform_work_group_size: 1
    .uses_dynamic_stack: false
    .vgpr_count:     233
    .vgpr_spill_count: 0
    .wavefront_size: 32
    .workgroup_processor_mode: 1
amdhsa.target:   amdgcn-amd-amdhsa--gfx1100
amdhsa.version:
  - 1
  - 2
...

	.end_amdgpu_metadata
